;; amdgpu-corpus repo=ROCm/rocFFT kind=compiled arch=gfx1030 opt=O3
	.text
	.amdgcn_target "amdgcn-amd-amdhsa--gfx1030"
	.amdhsa_code_object_version 6
	.protected	fft_rtc_back_len2700_factors_3_10_10_3_3_wgs_90_tpt_90_halfLds_dp_ip_CI_unitstride_sbrr_C2R_dirReg ; -- Begin function fft_rtc_back_len2700_factors_3_10_10_3_3_wgs_90_tpt_90_halfLds_dp_ip_CI_unitstride_sbrr_C2R_dirReg
	.globl	fft_rtc_back_len2700_factors_3_10_10_3_3_wgs_90_tpt_90_halfLds_dp_ip_CI_unitstride_sbrr_C2R_dirReg
	.p2align	8
	.type	fft_rtc_back_len2700_factors_3_10_10_3_3_wgs_90_tpt_90_halfLds_dp_ip_CI_unitstride_sbrr_C2R_dirReg,@function
fft_rtc_back_len2700_factors_3_10_10_3_3_wgs_90_tpt_90_halfLds_dp_ip_CI_unitstride_sbrr_C2R_dirReg: ; @fft_rtc_back_len2700_factors_3_10_10_3_3_wgs_90_tpt_90_halfLds_dp_ip_CI_unitstride_sbrr_C2R_dirReg
; %bb.0:
	s_mov_b64 s[30:31], s[2:3]
	s_mov_b64 s[28:29], s[0:1]
	s_clause 0x2
	s_load_dwordx4 s[8:11], s[4:5], 0x0
	s_load_dwordx2 s[2:3], s[4:5], 0x50
	s_load_dwordx2 s[12:13], s[4:5], 0x18
	v_mul_u32_u24_e32 v1, 0x2d9, v0
	v_mov_b32_e32 v3, 0
	s_add_u32 s28, s28, s7
	s_addc_u32 s29, s29, 0
	v_add_nc_u32_sdwa v5, s6, v1 dst_sel:DWORD dst_unused:UNUSED_PAD src0_sel:DWORD src1_sel:WORD_1
	v_mov_b32_e32 v1, 0
	v_mov_b32_e32 v6, v3
	;; [unrolled: 1-line block ×3, first 2 shown]
	s_waitcnt lgkmcnt(0)
	v_cmp_lt_u64_e64 s0, s[10:11], 2
	s_and_b32 vcc_lo, exec_lo, s0
	s_cbranch_vccnz .LBB0_8
; %bb.1:
	s_load_dwordx2 s[0:1], s[4:5], 0x10
	v_mov_b32_e32 v1, 0
	s_add_u32 s6, s12, 8
	v_mov_b32_e32 v2, 0
	s_addc_u32 s7, s13, 0
	s_mov_b64 s[16:17], 1
	s_waitcnt lgkmcnt(0)
	s_add_u32 s14, s0, 8
	s_addc_u32 s15, s1, 0
.LBB0_2:                                ; =>This Inner Loop Header: Depth=1
	s_load_dwordx2 s[18:19], s[14:15], 0x0
                                        ; implicit-def: $vgpr7_vgpr8
	s_mov_b32 s0, exec_lo
	s_waitcnt lgkmcnt(0)
	v_or_b32_e32 v4, s19, v6
	v_cmpx_ne_u64_e32 0, v[3:4]
	s_xor_b32 s1, exec_lo, s0
	s_cbranch_execz .LBB0_4
; %bb.3:                                ;   in Loop: Header=BB0_2 Depth=1
	v_cvt_f32_u32_e32 v4, s18
	v_cvt_f32_u32_e32 v7, s19
	s_sub_u32 s0, 0, s18
	s_subb_u32 s20, 0, s19
	v_fmac_f32_e32 v4, 0x4f800000, v7
	v_rcp_f32_e32 v4, v4
	v_mul_f32_e32 v4, 0x5f7ffffc, v4
	v_mul_f32_e32 v7, 0x2f800000, v4
	v_trunc_f32_e32 v7, v7
	v_fmac_f32_e32 v4, 0xcf800000, v7
	v_cvt_u32_f32_e32 v7, v7
	v_cvt_u32_f32_e32 v4, v4
	v_mul_lo_u32 v8, s0, v7
	v_mul_hi_u32 v9, s0, v4
	v_mul_lo_u32 v10, s20, v4
	v_add_nc_u32_e32 v8, v9, v8
	v_mul_lo_u32 v9, s0, v4
	v_add_nc_u32_e32 v8, v8, v10
	v_mul_hi_u32 v10, v4, v9
	v_mul_lo_u32 v11, v4, v8
	v_mul_hi_u32 v12, v4, v8
	v_mul_hi_u32 v13, v7, v9
	v_mul_lo_u32 v9, v7, v9
	v_mul_hi_u32 v14, v7, v8
	v_mul_lo_u32 v8, v7, v8
	v_add_co_u32 v10, vcc_lo, v10, v11
	v_add_co_ci_u32_e32 v11, vcc_lo, 0, v12, vcc_lo
	v_add_co_u32 v9, vcc_lo, v10, v9
	v_add_co_ci_u32_e32 v9, vcc_lo, v11, v13, vcc_lo
	v_add_co_ci_u32_e32 v10, vcc_lo, 0, v14, vcc_lo
	v_add_co_u32 v8, vcc_lo, v9, v8
	v_add_co_ci_u32_e32 v9, vcc_lo, 0, v10, vcc_lo
	v_add_co_u32 v4, vcc_lo, v4, v8
	v_add_co_ci_u32_e32 v7, vcc_lo, v7, v9, vcc_lo
	v_mul_hi_u32 v8, s0, v4
	v_mul_lo_u32 v10, s20, v4
	v_mul_lo_u32 v9, s0, v7
	v_add_nc_u32_e32 v8, v8, v9
	v_mul_lo_u32 v9, s0, v4
	v_add_nc_u32_e32 v8, v8, v10
	v_mul_hi_u32 v10, v4, v9
	v_mul_lo_u32 v11, v4, v8
	v_mul_hi_u32 v12, v4, v8
	v_mul_hi_u32 v13, v7, v9
	v_mul_lo_u32 v9, v7, v9
	v_mul_hi_u32 v14, v7, v8
	v_mul_lo_u32 v8, v7, v8
	v_add_co_u32 v10, vcc_lo, v10, v11
	v_add_co_ci_u32_e32 v11, vcc_lo, 0, v12, vcc_lo
	v_add_co_u32 v9, vcc_lo, v10, v9
	v_add_co_ci_u32_e32 v9, vcc_lo, v11, v13, vcc_lo
	v_add_co_ci_u32_e32 v10, vcc_lo, 0, v14, vcc_lo
	v_add_co_u32 v8, vcc_lo, v9, v8
	v_add_co_ci_u32_e32 v9, vcc_lo, 0, v10, vcc_lo
	v_add_co_u32 v4, vcc_lo, v4, v8
	v_add_co_ci_u32_e32 v11, vcc_lo, v7, v9, vcc_lo
	v_mul_hi_u32 v13, v5, v4
	v_mad_u64_u32 v[9:10], null, v6, v4, 0
	v_mad_u64_u32 v[7:8], null, v5, v11, 0
	;; [unrolled: 1-line block ×3, first 2 shown]
	v_add_co_u32 v4, vcc_lo, v13, v7
	v_add_co_ci_u32_e32 v7, vcc_lo, 0, v8, vcc_lo
	v_add_co_u32 v4, vcc_lo, v4, v9
	v_add_co_ci_u32_e32 v4, vcc_lo, v7, v10, vcc_lo
	v_add_co_ci_u32_e32 v7, vcc_lo, 0, v12, vcc_lo
	v_add_co_u32 v4, vcc_lo, v4, v11
	v_add_co_ci_u32_e32 v9, vcc_lo, 0, v7, vcc_lo
	v_mul_lo_u32 v10, s19, v4
	v_mad_u64_u32 v[7:8], null, s18, v4, 0
	v_mul_lo_u32 v11, s18, v9
	v_sub_co_u32 v7, vcc_lo, v5, v7
	v_add3_u32 v8, v8, v11, v10
	v_sub_nc_u32_e32 v10, v6, v8
	v_subrev_co_ci_u32_e64 v10, s0, s19, v10, vcc_lo
	v_add_co_u32 v11, s0, v4, 2
	v_add_co_ci_u32_e64 v12, s0, 0, v9, s0
	v_sub_co_u32 v13, s0, v7, s18
	v_sub_co_ci_u32_e32 v8, vcc_lo, v6, v8, vcc_lo
	v_subrev_co_ci_u32_e64 v10, s0, 0, v10, s0
	v_cmp_le_u32_e32 vcc_lo, s18, v13
	v_cmp_eq_u32_e64 s0, s19, v8
	v_cndmask_b32_e64 v13, 0, -1, vcc_lo
	v_cmp_le_u32_e32 vcc_lo, s19, v10
	v_cndmask_b32_e64 v14, 0, -1, vcc_lo
	v_cmp_le_u32_e32 vcc_lo, s18, v7
	;; [unrolled: 2-line block ×3, first 2 shown]
	v_cndmask_b32_e64 v15, 0, -1, vcc_lo
	v_cmp_eq_u32_e32 vcc_lo, s19, v10
	v_cndmask_b32_e64 v7, v15, v7, s0
	v_cndmask_b32_e32 v10, v14, v13, vcc_lo
	v_add_co_u32 v13, vcc_lo, v4, 1
	v_add_co_ci_u32_e32 v14, vcc_lo, 0, v9, vcc_lo
	v_cmp_ne_u32_e32 vcc_lo, 0, v10
	v_cndmask_b32_e32 v8, v14, v12, vcc_lo
	v_cndmask_b32_e32 v10, v13, v11, vcc_lo
	v_cmp_ne_u32_e32 vcc_lo, 0, v7
	v_cndmask_b32_e32 v8, v9, v8, vcc_lo
	v_cndmask_b32_e32 v7, v4, v10, vcc_lo
.LBB0_4:                                ;   in Loop: Header=BB0_2 Depth=1
	s_andn2_saveexec_b32 s0, s1
	s_cbranch_execz .LBB0_6
; %bb.5:                                ;   in Loop: Header=BB0_2 Depth=1
	v_cvt_f32_u32_e32 v4, s18
	s_sub_i32 s1, 0, s18
	v_rcp_iflag_f32_e32 v4, v4
	v_mul_f32_e32 v4, 0x4f7ffffe, v4
	v_cvt_u32_f32_e32 v4, v4
	v_mul_lo_u32 v7, s1, v4
	v_mul_hi_u32 v7, v4, v7
	v_add_nc_u32_e32 v4, v4, v7
	v_mul_hi_u32 v4, v5, v4
	v_mul_lo_u32 v7, v4, s18
	v_add_nc_u32_e32 v8, 1, v4
	v_sub_nc_u32_e32 v7, v5, v7
	v_subrev_nc_u32_e32 v9, s18, v7
	v_cmp_le_u32_e32 vcc_lo, s18, v7
	v_cndmask_b32_e32 v7, v7, v9, vcc_lo
	v_cndmask_b32_e32 v4, v4, v8, vcc_lo
	v_cmp_le_u32_e32 vcc_lo, s18, v7
	v_add_nc_u32_e32 v8, 1, v4
	v_cndmask_b32_e32 v7, v4, v8, vcc_lo
	v_mov_b32_e32 v8, v3
.LBB0_6:                                ;   in Loop: Header=BB0_2 Depth=1
	s_or_b32 exec_lo, exec_lo, s0
	s_load_dwordx2 s[0:1], s[6:7], 0x0
	v_mul_lo_u32 v4, v8, s18
	v_mul_lo_u32 v11, v7, s19
	v_mad_u64_u32 v[9:10], null, v7, s18, 0
	s_add_u32 s16, s16, 1
	s_addc_u32 s17, s17, 0
	s_add_u32 s6, s6, 8
	s_addc_u32 s7, s7, 0
	;; [unrolled: 2-line block ×3, first 2 shown]
	v_add3_u32 v4, v10, v11, v4
	v_sub_co_u32 v5, vcc_lo, v5, v9
	v_sub_co_ci_u32_e32 v4, vcc_lo, v6, v4, vcc_lo
	s_waitcnt lgkmcnt(0)
	v_mul_lo_u32 v6, s1, v5
	v_mul_lo_u32 v4, s0, v4
	v_mad_u64_u32 v[1:2], null, s0, v5, v[1:2]
	v_cmp_ge_u64_e64 s0, s[16:17], s[10:11]
	s_and_b32 vcc_lo, exec_lo, s0
	v_add3_u32 v2, v6, v2, v4
	s_cbranch_vccnz .LBB0_9
; %bb.7:                                ;   in Loop: Header=BB0_2 Depth=1
	v_mov_b32_e32 v5, v7
	v_mov_b32_e32 v6, v8
	s_branch .LBB0_2
.LBB0_8:
	v_mov_b32_e32 v8, v6
	v_mov_b32_e32 v7, v5
.LBB0_9:
	s_lshl_b64 s[0:1], s[10:11], 3
	v_mul_hi_u32 v5, 0x2d82d83, v0
	s_add_u32 s0, s12, s0
	s_addc_u32 s1, s13, s1
	s_load_dwordx2 s[0:1], s[0:1], 0x0
	s_load_dwordx2 s[4:5], s[4:5], 0x20
	s_waitcnt lgkmcnt(0)
	v_mul_lo_u32 v3, s0, v8
	v_mul_lo_u32 v4, s1, v7
	v_mad_u64_u32 v[1:2], null, s0, v7, v[1:2]
	v_cmp_gt_u64_e32 vcc_lo, s[4:5], v[7:8]
	v_add3_u32 v2, v4, v2, v3
	v_mul_u32_u24_e32 v3, 0x5a, v5
	v_lshlrev_b64 v[1:2], 4, v[1:2]
	v_sub_nc_u32_e32 v180, v0, v3
	buffer_store_dword v1, off, s[28:31], 0 ; 4-byte Folded Spill
	buffer_store_dword v2, off, s[28:31], 0 offset:4 ; 4-byte Folded Spill
	s_and_saveexec_b32 s1, vcc_lo
	s_cbranch_execz .LBB0_13
; %bb.10:
	s_clause 0x1
	buffer_load_dword v0, off, s[28:31], 0
	buffer_load_dword v1, off, s[28:31], 0 offset:4
	v_mov_b32_e32 v181, 0
	v_lshl_add_u32 v122, v180, 4, 0
	v_lshlrev_b64 v[2:3], 4, v[180:181]
	s_waitcnt vmcnt(1)
	v_add_co_u32 v0, s0, s2, v0
	s_waitcnt vmcnt(0)
	v_add_co_ci_u32_e64 v1, s0, s3, v1, s0
	v_add_co_u32 v58, s0, v0, v2
	v_add_co_ci_u32_e64 v59, s0, v1, v3, s0
	s_clause 0x1
	global_load_dwordx4 v[2:5], v[58:59], off
	global_load_dwordx4 v[6:9], v[58:59], off offset:1440
	v_add_co_u32 v10, s0, 0x800, v58
	v_add_co_ci_u32_e64 v11, s0, 0, v59, s0
	v_add_co_u32 v18, s0, 0x1000, v58
	v_add_co_ci_u32_e64 v19, s0, 0, v59, s0
	v_add_co_u32 v22, s0, 0x1800, v58
	v_add_co_ci_u32_e64 v23, s0, 0, v59, s0
	v_add_co_u32 v30, s0, 0x2000, v58
	v_add_co_ci_u32_e64 v31, s0, 0, v59, s0
	v_add_co_u32 v34, s0, 0x2800, v58
	v_add_co_ci_u32_e64 v35, s0, 0, v59, s0
	v_add_co_u32 v38, s0, 0x3000, v58
	v_add_co_ci_u32_e64 v39, s0, 0, v59, s0
	v_add_co_u32 v46, s0, 0x3800, v58
	v_add_co_ci_u32_e64 v47, s0, 0, v59, s0
	v_add_co_u32 v50, s0, 0x4000, v58
	v_add_co_ci_u32_e64 v51, s0, 0, v59, s0
	v_add_co_u32 v60, s0, 0x4800, v58
	v_add_co_ci_u32_e64 v61, s0, 0, v59, s0
	v_add_co_u32 v62, s0, 0x5000, v58
	v_add_co_ci_u32_e64 v63, s0, 0, v59, s0
	v_add_co_u32 v70, s0, 0x5800, v58
	v_add_co_ci_u32_e64 v71, s0, 0, v59, s0
	v_add_co_u32 v74, s0, 0x6000, v58
	v_add_co_ci_u32_e64 v75, s0, 0, v59, s0
	v_add_co_u32 v78, s0, 0x6800, v58
	v_add_co_ci_u32_e64 v79, s0, 0, v59, s0
	v_add_co_u32 v86, s0, 0x7000, v58
	v_add_co_ci_u32_e64 v87, s0, 0, v59, s0
	v_add_co_u32 v90, s0, 0x7800, v58
	v_add_co_ci_u32_e64 v91, s0, 0, v59, s0
	v_add_co_u32 v98, s0, 0x8000, v58
	v_add_co_ci_u32_e64 v99, s0, 0, v59, s0
	v_add_co_u32 v102, s0, 0x8800, v58
	v_add_co_ci_u32_e64 v103, s0, 0, v59, s0
	v_add_co_u32 v110, s0, 0x9000, v58
	v_add_co_ci_u32_e64 v111, s0, 0, v59, s0
	v_add_co_u32 v114, s0, 0x9800, v58
	v_add_co_ci_u32_e64 v115, s0, 0, v59, s0
	v_add_co_u32 v118, s0, 0xa000, v58
	v_add_co_ci_u32_e64 v119, s0, 0, v59, s0
	s_clause 0x1b
	global_load_dwordx4 v[10:13], v[10:11], off offset:832
	global_load_dwordx4 v[14:17], v[18:19], off offset:224
	;; [unrolled: 1-line block ×28, first 2 shown]
	v_cmp_eq_u32_e64 s0, 0x59, v180
	s_waitcnt vmcnt(29)
	ds_write_b128 v122, v[2:5]
	s_waitcnt vmcnt(28)
	ds_write_b128 v122, v[6:9] offset:1440
	s_waitcnt vmcnt(27)
	ds_write_b128 v122, v[10:13] offset:2880
	;; [unrolled: 2-line block ×29, first 2 shown]
	s_and_saveexec_b32 s4, s0
	s_cbranch_execz .LBB0_12
; %bb.11:
	v_add_co_u32 v0, s0, 0xa800, v0
	v_add_co_ci_u32_e64 v1, s0, 0, v1, s0
	v_mov_b32_e32 v180, 0x59
	global_load_dwordx4 v[0:3], v[0:1], off offset:192
	s_waitcnt vmcnt(0)
	ds_write_b128 v181, v[0:3] offset:43200
.LBB0_12:
	s_or_b32 exec_lo, exec_lo, s4
.LBB0_13:
	s_or_b32 exec_lo, exec_lo, s1
	v_lshlrev_b32_e32 v0, 4, v180
	s_waitcnt lgkmcnt(0)
	s_waitcnt_vscnt null, 0x0
	s_barrier
	buffer_gl0_inv
	s_add_u32 s1, s8, 0xa890
	v_add_nc_u32_e32 v182, 0, v0
	v_sub_nc_u32_e32 v14, 0, v0
	s_addc_u32 s4, s9, 0
	s_mov_b32 s5, exec_lo
                                        ; implicit-def: $vgpr4_vgpr5
	ds_read_b64 v[6:7], v182
	ds_read_b64 v[8:9], v14 offset:43200
	s_waitcnt lgkmcnt(0)
	v_add_f64 v[0:1], v[6:7], v[8:9]
	v_add_f64 v[2:3], v[6:7], -v[8:9]
	v_cmpx_ne_u32_e32 0, v180
	s_xor_b32 s5, exec_lo, s5
	s_cbranch_execz .LBB0_15
; %bb.14:
	v_mov_b32_e32 v181, 0
	v_add_f64 v[12:13], v[6:7], v[8:9]
	v_add_f64 v[15:16], v[6:7], -v[8:9]
	v_lshlrev_b64 v[0:1], 4, v[180:181]
	v_add_co_u32 v0, s0, s1, v0
	v_add_co_ci_u32_e64 v1, s0, s4, v1, s0
	global_load_dwordx4 v[2:5], v[0:1], off
	ds_read_b64 v[0:1], v14 offset:43208
	ds_read_b64 v[10:11], v182 offset:8
	s_waitcnt lgkmcnt(0)
	v_add_f64 v[6:7], v[0:1], v[10:11]
	v_add_f64 v[0:1], v[10:11], -v[0:1]
	s_waitcnt vmcnt(0)
	v_fma_f64 v[8:9], v[15:16], v[4:5], v[12:13]
	v_fma_f64 v[10:11], -v[15:16], v[4:5], v[12:13]
	v_fma_f64 v[12:13], v[6:7], v[4:5], -v[0:1]
	v_fma_f64 v[4:5], v[6:7], v[4:5], v[0:1]
	v_fma_f64 v[0:1], -v[6:7], v[2:3], v[8:9]
	v_fma_f64 v[6:7], v[6:7], v[2:3], v[10:11]
	v_fma_f64 v[8:9], v[15:16], v[2:3], v[12:13]
	;; [unrolled: 1-line block ×3, first 2 shown]
	v_mov_b32_e32 v4, v180
	v_mov_b32_e32 v5, v181
	ds_write_b128 v14, v[6:9] offset:43200
.LBB0_15:
	s_andn2_saveexec_b32 s0, s5
	s_cbranch_execz .LBB0_17
; %bb.16:
	v_mov_b32_e32 v12, 0
	ds_read_b128 v[4:7], v12 offset:21600
	s_waitcnt lgkmcnt(0)
	v_add_f64 v[8:9], v[4:5], v[4:5]
	v_mul_f64 v[10:11], v[6:7], -2.0
	v_mov_b32_e32 v4, 0
	v_mov_b32_e32 v5, 0
	ds_write_b128 v12, v[8:11] offset:21600
.LBB0_17:
	s_or_b32 exec_lo, exec_lo, s0
	v_lshlrev_b64 v[4:5], 4, v[4:5]
	ds_write_b128 v182, v[0:3]
	v_and_b32_e32 v111, 0xff, v180
	v_mov_b32_e32 v110, 9
	v_mad_u32_u24 v109, v180, 48, 0
	v_mov_b32_e32 v233, v180
	v_add_co_u32 v4, s0, s1, v4
	v_add_co_ci_u32_e64 v5, s0, s4, v5, s0
	s_mov_b32 s4, 0xe8584caa
	v_add_co_u32 v10, s0, 0x800, v4
	global_load_dwordx4 v[6:9], v[4:5], off offset:1440
	v_add_co_ci_u32_e64 v11, s0, 0, v5, s0
	v_add_co_u32 v23, s0, 0x1000, v4
	v_add_co_ci_u32_e64 v24, s0, 0, v5, s0
	global_load_dwordx4 v[10:13], v[10:11], off offset:832
	s_mov_b32 s5, 0xbfebb67a
	s_mov_b32 s7, 0x3febb67a
	global_load_dwordx4 v[15:18], v[23:24], off offset:224
	ds_read_b128 v[0:3], v182 offset:1440
	ds_read_b128 v[19:22], v14 offset:41760
	global_load_dwordx4 v[23:26], v[23:24], off offset:1664
	s_mov_b32 s6, s4
	v_add_nc_u32_e32 v112, 0x5468, v109
	v_add_nc_u32_e32 v175, 0x5478, v109
	;; [unrolled: 1-line block ×10, first 2 shown]
	s_mov_b32 s14, 0x134454ff
	s_mov_b32 s15, 0xbfee6f0e
	;; [unrolled: 1-line block ×7, first 2 shown]
	s_waitcnt lgkmcnt(0)
	v_add_f64 v[27:28], v[0:1], v[19:20]
	v_add_f64 v[29:30], v[21:22], v[2:3]
	v_add_f64 v[31:32], v[0:1], -v[19:20]
	v_add_f64 v[0:1], v[2:3], -v[21:22]
	s_mov_b32 s12, s16
	s_mov_b32 s18, 0x372fe950
	;; [unrolled: 1-line block ×9, first 2 shown]
	s_waitcnt vmcnt(3)
	v_fma_f64 v[2:3], v[31:32], v[8:9], v[27:28]
	v_fma_f64 v[19:20], v[29:30], v[8:9], v[0:1]
	v_fma_f64 v[21:22], -v[31:32], v[8:9], v[27:28]
	v_fma_f64 v[8:9], v[29:30], v[8:9], -v[0:1]
	v_add_co_u32 v27, s0, 0x1800, v4
	v_add_co_ci_u32_e64 v28, s0, 0, v5, s0
	v_fma_f64 v[0:1], -v[29:30], v[6:7], v[2:3]
	v_fma_f64 v[2:3], v[31:32], v[6:7], v[19:20]
	v_fma_f64 v[19:20], v[29:30], v[6:7], v[21:22]
	;; [unrolled: 1-line block ×3, first 2 shown]
	ds_write_b128 v182, v[0:3] offset:1440
	ds_write_b128 v14, v[19:22] offset:41760
	ds_read_b128 v[0:3], v182 offset:2880
	ds_read_b128 v[6:9], v14 offset:40320
	global_load_dwordx4 v[19:22], v[27:28], off offset:1056
	s_waitcnt lgkmcnt(0)
	v_add_f64 v[27:28], v[0:1], v[6:7]
	v_add_f64 v[29:30], v[8:9], v[2:3]
	v_add_f64 v[31:32], v[0:1], -v[6:7]
	v_add_f64 v[0:1], v[2:3], -v[8:9]
	s_waitcnt vmcnt(3)
	v_fma_f64 v[2:3], v[31:32], v[12:13], v[27:28]
	v_fma_f64 v[6:7], v[29:30], v[12:13], v[0:1]
	v_fma_f64 v[8:9], -v[31:32], v[12:13], v[27:28]
	v_fma_f64 v[12:13], v[29:30], v[12:13], -v[0:1]
	v_add_co_u32 v27, s0, 0x2000, v4
	v_add_co_ci_u32_e64 v28, s0, 0, v5, s0
	v_fma_f64 v[0:1], -v[29:30], v[10:11], v[2:3]
	v_fma_f64 v[2:3], v[31:32], v[10:11], v[6:7]
	v_fma_f64 v[6:7], v[29:30], v[10:11], v[8:9]
	;; [unrolled: 1-line block ×3, first 2 shown]
	ds_write_b128 v182, v[0:3] offset:2880
	ds_write_b128 v14, v[6:9] offset:40320
	ds_read_b128 v[0:3], v182 offset:4320
	ds_read_b128 v[6:9], v14 offset:38880
	global_load_dwordx4 v[10:13], v[27:28], off offset:448
	s_waitcnt lgkmcnt(0)
	v_add_f64 v[29:30], v[0:1], v[6:7]
	v_add_f64 v[31:32], v[8:9], v[2:3]
	v_add_f64 v[33:34], v[0:1], -v[6:7]
	v_add_f64 v[0:1], v[2:3], -v[8:9]
	s_waitcnt vmcnt(3)
	v_fma_f64 v[2:3], v[33:34], v[17:18], v[29:30]
	v_fma_f64 v[6:7], v[31:32], v[17:18], v[0:1]
	v_fma_f64 v[8:9], -v[33:34], v[17:18], v[29:30]
	v_fma_f64 v[17:18], v[31:32], v[17:18], -v[0:1]
	v_fma_f64 v[0:1], -v[31:32], v[15:16], v[2:3]
	v_fma_f64 v[2:3], v[33:34], v[15:16], v[6:7]
	v_fma_f64 v[6:7], v[31:32], v[15:16], v[8:9]
	;; [unrolled: 1-line block ×3, first 2 shown]
	ds_write_b128 v182, v[0:3] offset:4320
	ds_write_b128 v14, v[6:9] offset:38880
	ds_read_b128 v[0:3], v182 offset:5760
	ds_read_b128 v[6:9], v14 offset:37440
	global_load_dwordx4 v[15:18], v[27:28], off offset:1888
	s_waitcnt lgkmcnt(0)
	v_add_f64 v[27:28], v[0:1], v[6:7]
	v_add_f64 v[29:30], v[8:9], v[2:3]
	v_add_f64 v[31:32], v[0:1], -v[6:7]
	v_add_f64 v[0:1], v[2:3], -v[8:9]
	s_waitcnt vmcnt(3)
	v_fma_f64 v[2:3], v[31:32], v[25:26], v[27:28]
	v_fma_f64 v[6:7], v[29:30], v[25:26], v[0:1]
	v_fma_f64 v[8:9], -v[31:32], v[25:26], v[27:28]
	v_fma_f64 v[25:26], v[29:30], v[25:26], -v[0:1]
	v_fma_f64 v[0:1], -v[29:30], v[23:24], v[2:3]
	v_fma_f64 v[2:3], v[31:32], v[23:24], v[6:7]
	v_fma_f64 v[6:7], v[29:30], v[23:24], v[8:9]
	;; [unrolled: 1-line block ×3, first 2 shown]
	v_add_co_u32 v23, s0, 0x2800, v4
	v_add_co_ci_u32_e64 v24, s0, 0, v5, s0
	ds_write_b128 v182, v[0:3] offset:5760
	ds_write_b128 v14, v[6:9] offset:37440
	ds_read_b128 v[0:3], v182 offset:7200
	ds_read_b128 v[6:9], v14 offset:36000
	global_load_dwordx4 v[23:26], v[23:24], off offset:1280
	s_waitcnt lgkmcnt(0)
	v_add_f64 v[27:28], v[0:1], v[6:7]
	v_add_f64 v[29:30], v[8:9], v[2:3]
	v_add_f64 v[31:32], v[0:1], -v[6:7]
	v_add_f64 v[0:1], v[2:3], -v[8:9]
	s_waitcnt vmcnt(3)
	v_fma_f64 v[2:3], v[31:32], v[21:22], v[27:28]
	v_fma_f64 v[6:7], v[29:30], v[21:22], v[0:1]
	v_fma_f64 v[8:9], -v[31:32], v[21:22], v[27:28]
	v_fma_f64 v[21:22], v[29:30], v[21:22], -v[0:1]
	v_fma_f64 v[0:1], -v[29:30], v[19:20], v[2:3]
	v_fma_f64 v[2:3], v[31:32], v[19:20], v[6:7]
	v_fma_f64 v[6:7], v[29:30], v[19:20], v[8:9]
	;; [unrolled: 1-line block ×3, first 2 shown]
	v_add_co_u32 v19, s0, 0x3000, v4
	v_add_co_ci_u32_e64 v20, s0, 0, v5, s0
	ds_write_b128 v182, v[0:3] offset:7200
	ds_write_b128 v14, v[6:9] offset:36000
	ds_read_b128 v[0:3], v182 offset:8640
	ds_read_b128 v[6:9], v14 offset:34560
	global_load_dwordx4 v[19:22], v[19:20], off offset:672
	s_waitcnt lgkmcnt(0)
	v_add_f64 v[27:28], v[0:1], v[6:7]
	v_add_f64 v[29:30], v[8:9], v[2:3]
	v_add_f64 v[31:32], v[0:1], -v[6:7]
	v_add_f64 v[0:1], v[2:3], -v[8:9]
	s_waitcnt vmcnt(3)
	v_fma_f64 v[2:3], v[31:32], v[12:13], v[27:28]
	v_fma_f64 v[6:7], v[29:30], v[12:13], v[0:1]
	v_fma_f64 v[8:9], -v[31:32], v[12:13], v[27:28]
	v_fma_f64 v[12:13], v[29:30], v[12:13], -v[0:1]
	v_add_co_u32 v27, s0, 0x3800, v4
	v_add_co_ci_u32_e64 v28, s0, 0, v5, s0
	v_fma_f64 v[0:1], -v[29:30], v[10:11], v[2:3]
	v_fma_f64 v[2:3], v[31:32], v[10:11], v[6:7]
	v_fma_f64 v[6:7], v[29:30], v[10:11], v[8:9]
	v_fma_f64 v[8:9], v[31:32], v[10:11], v[12:13]
	ds_write_b128 v182, v[0:3] offset:8640
	ds_write_b128 v14, v[6:9] offset:34560
	ds_read_b128 v[0:3], v182 offset:10080
	ds_read_b128 v[6:9], v14 offset:33120
	global_load_dwordx4 v[10:13], v[27:28], off offset:64
	s_waitcnt lgkmcnt(0)
	v_add_f64 v[29:30], v[0:1], v[6:7]
	v_add_f64 v[31:32], v[8:9], v[2:3]
	v_add_f64 v[33:34], v[0:1], -v[6:7]
	v_add_f64 v[0:1], v[2:3], -v[8:9]
	s_waitcnt vmcnt(3)
	v_fma_f64 v[2:3], v[33:34], v[17:18], v[29:30]
	v_fma_f64 v[6:7], v[31:32], v[17:18], v[0:1]
	v_fma_f64 v[8:9], -v[33:34], v[17:18], v[29:30]
	v_fma_f64 v[17:18], v[31:32], v[17:18], -v[0:1]
	v_fma_f64 v[0:1], -v[31:32], v[15:16], v[2:3]
	v_fma_f64 v[2:3], v[33:34], v[15:16], v[6:7]
	v_fma_f64 v[6:7], v[31:32], v[15:16], v[8:9]
	;; [unrolled: 1-line block ×3, first 2 shown]
	ds_write_b128 v182, v[0:3] offset:10080
	ds_write_b128 v14, v[6:9] offset:33120
	ds_read_b128 v[0:3], v182 offset:11520
	ds_read_b128 v[6:9], v14 offset:31680
	global_load_dwordx4 v[15:18], v[27:28], off offset:1504
	s_waitcnt lgkmcnt(0)
	v_add_f64 v[27:28], v[0:1], v[6:7]
	v_add_f64 v[29:30], v[8:9], v[2:3]
	v_add_f64 v[31:32], v[0:1], -v[6:7]
	v_add_f64 v[0:1], v[2:3], -v[8:9]
	s_waitcnt vmcnt(3)
	v_fma_f64 v[2:3], v[31:32], v[25:26], v[27:28]
	v_fma_f64 v[6:7], v[29:30], v[25:26], v[0:1]
	v_fma_f64 v[8:9], -v[31:32], v[25:26], v[27:28]
	v_fma_f64 v[25:26], v[29:30], v[25:26], -v[0:1]
	v_fma_f64 v[0:1], -v[29:30], v[23:24], v[2:3]
	v_fma_f64 v[2:3], v[31:32], v[23:24], v[6:7]
	v_fma_f64 v[6:7], v[29:30], v[23:24], v[8:9]
	;; [unrolled: 1-line block ×3, first 2 shown]
	v_add_co_u32 v23, s0, 0x4000, v4
	v_add_co_ci_u32_e64 v24, s0, 0, v5, s0
	ds_write_b128 v182, v[0:3] offset:11520
	ds_write_b128 v14, v[6:9] offset:31680
	ds_read_b128 v[0:3], v182 offset:12960
	ds_read_b128 v[6:9], v14 offset:30240
	global_load_dwordx4 v[23:26], v[23:24], off offset:896
	s_waitcnt lgkmcnt(0)
	v_add_f64 v[27:28], v[0:1], v[6:7]
	v_add_f64 v[29:30], v[8:9], v[2:3]
	v_add_f64 v[31:32], v[0:1], -v[6:7]
	v_add_f64 v[0:1], v[2:3], -v[8:9]
	s_waitcnt vmcnt(3)
	v_fma_f64 v[2:3], v[31:32], v[21:22], v[27:28]
	v_fma_f64 v[6:7], v[29:30], v[21:22], v[0:1]
	v_fma_f64 v[8:9], -v[31:32], v[21:22], v[27:28]
	v_fma_f64 v[21:22], v[29:30], v[21:22], -v[0:1]
	v_add_co_u32 v27, s0, 0x4800, v4
	v_add_co_ci_u32_e64 v28, s0, 0, v5, s0
	v_fma_f64 v[0:1], -v[29:30], v[19:20], v[2:3]
	v_fma_f64 v[2:3], v[31:32], v[19:20], v[6:7]
	v_fma_f64 v[6:7], v[29:30], v[19:20], v[8:9]
	;; [unrolled: 1-line block ×3, first 2 shown]
	ds_write_b128 v182, v[0:3] offset:12960
	ds_write_b128 v14, v[6:9] offset:30240
	ds_read_b128 v[0:3], v182 offset:14400
	ds_read_b128 v[4:7], v14 offset:28800
	global_load_dwordx4 v[19:22], v[27:28], off offset:288
	s_waitcnt lgkmcnt(0)
	v_add_f64 v[8:9], v[0:1], v[4:5]
	v_add_f64 v[29:30], v[6:7], v[2:3]
	v_add_f64 v[31:32], v[0:1], -v[4:5]
	v_add_f64 v[0:1], v[2:3], -v[6:7]
	s_waitcnt vmcnt(3)
	v_fma_f64 v[2:3], v[31:32], v[12:13], v[8:9]
	v_fma_f64 v[4:5], v[29:30], v[12:13], v[0:1]
	v_fma_f64 v[6:7], -v[31:32], v[12:13], v[8:9]
	v_fma_f64 v[8:9], v[29:30], v[12:13], -v[0:1]
	v_fma_f64 v[0:1], -v[29:30], v[10:11], v[2:3]
	v_fma_f64 v[2:3], v[31:32], v[10:11], v[4:5]
	v_fma_f64 v[4:5], v[29:30], v[10:11], v[6:7]
	;; [unrolled: 1-line block ×3, first 2 shown]
	ds_write_b128 v182, v[0:3] offset:14400
	ds_write_b128 v14, v[4:7] offset:28800
	ds_read_b128 v[4:7], v182 offset:15840
	ds_read_b128 v[8:11], v14 offset:27360
	global_load_dwordx4 v[0:3], v[27:28], off offset:1728
	s_waitcnt lgkmcnt(0)
	v_add_f64 v[12:13], v[4:5], v[8:9]
	v_add_f64 v[27:28], v[10:11], v[6:7]
	v_add_f64 v[29:30], v[4:5], -v[8:9]
	v_add_f64 v[4:5], v[6:7], -v[10:11]
	s_waitcnt vmcnt(3)
	v_fma_f64 v[6:7], v[29:30], v[17:18], v[12:13]
	v_fma_f64 v[8:9], v[27:28], v[17:18], v[4:5]
	v_fma_f64 v[10:11], -v[29:30], v[17:18], v[12:13]
	v_fma_f64 v[12:13], v[27:28], v[17:18], -v[4:5]
	v_fma_f64 v[4:5], -v[27:28], v[15:16], v[6:7]
	v_fma_f64 v[6:7], v[29:30], v[15:16], v[8:9]
	v_fma_f64 v[8:9], v[27:28], v[15:16], v[10:11]
	v_fma_f64 v[10:11], v[29:30], v[15:16], v[12:13]
	ds_write_b128 v182, v[4:7] offset:15840
	ds_write_b128 v14, v[8:11] offset:27360
	ds_read_b128 v[4:7], v182 offset:17280
	ds_read_b128 v[8:11], v14 offset:25920
	s_waitcnt lgkmcnt(0)
	v_add_f64 v[12:13], v[4:5], v[8:9]
	v_add_f64 v[15:16], v[10:11], v[6:7]
	v_add_f64 v[17:18], v[4:5], -v[8:9]
	v_add_f64 v[4:5], v[6:7], -v[10:11]
	s_waitcnt vmcnt(2)
	v_fma_f64 v[6:7], v[17:18], v[25:26], v[12:13]
	v_fma_f64 v[8:9], v[15:16], v[25:26], v[4:5]
	v_fma_f64 v[10:11], -v[17:18], v[25:26], v[12:13]
	v_fma_f64 v[12:13], v[15:16], v[25:26], -v[4:5]
	v_fma_f64 v[4:5], -v[15:16], v[23:24], v[6:7]
	v_fma_f64 v[6:7], v[17:18], v[23:24], v[8:9]
	v_fma_f64 v[8:9], v[15:16], v[23:24], v[10:11]
	v_fma_f64 v[10:11], v[17:18], v[23:24], v[12:13]
	ds_write_b128 v182, v[4:7] offset:17280
	ds_write_b128 v14, v[8:11] offset:25920
	ds_read_b128 v[4:7], v182 offset:18720
	ds_read_b128 v[8:11], v14 offset:24480
	;; [unrolled: 18-line block ×3, first 2 shown]
	s_waitcnt lgkmcnt(0)
	v_add_f64 v[15:16], v[6:7], v[10:11]
	v_add_f64 v[4:5], v[12:13], v[8:9]
	v_add_f64 v[6:7], v[6:7], -v[10:11]
	v_add_f64 v[17:18], v[8:9], -v[12:13]
	s_waitcnt vmcnt(0)
	v_fma_f64 v[8:9], v[6:7], v[2:3], v[15:16]
	v_fma_f64 v[10:11], v[4:5], v[2:3], v[17:18]
	v_fma_f64 v[12:13], -v[6:7], v[2:3], v[15:16]
	v_fma_f64 v[2:3], v[4:5], v[2:3], -v[17:18]
	v_mul_lo_u16 v15, 0xab, v111
	v_mul_lo_u16 v111, 0x89, v111
	v_lshrrev_b16 v113, 9, v15
	v_lshrrev_b16 v111, 12, v111
	v_fma_f64 v[8:9], -v[4:5], v[0:1], v[8:9]
	v_fma_f64 v[10:11], v[6:7], v[0:1], v[10:11]
	v_fma_f64 v[4:5], v[4:5], v[0:1], v[12:13]
	;; [unrolled: 1-line block ×3, first 2 shown]
	v_mul_lo_u16 v0, v113, 3
	ds_write_b128 v182, v[8:11] offset:20160
	ds_write_b128 v14, v[4:7] offset:23040
	v_sub_nc_u16 v114, v180, v0
	s_waitcnt lgkmcnt(0)
	s_barrier
	buffer_gl0_inv
	v_mul_u32_u24_sdwa v0, v114, v110 dst_sel:DWORD dst_unused:UNUSED_PAD src0_sel:BYTE_0 src1_sel:DWORD
	s_barrier
	buffer_gl0_inv
	v_lshlrev_b32_e32 v20, 4, v0
	ds_read_b128 v[0:3], v182 offset:14400
	ds_read_b128 v[4:7], v182 offset:12960
	ds_read_b128 v[8:11], v182
	ds_read_b128 v[12:15], v182 offset:41760
	ds_read_b128 v[16:19], v182 offset:1440
	;; [unrolled: 1-line block ×27, first 2 shown]
	s_waitcnt lgkmcnt(21)
	v_add_f64 v[139:140], v[0:1], v[33:34]
	v_add_f64 v[143:144], v[2:3], v[35:36]
	s_waitcnt lgkmcnt(19)
	v_add_f64 v[151:152], v[25:26], v[41:42]
	v_add_f64 v[159:160], v[27:28], v[43:44]
	;; [unrolled: 1-line block ×4, first 2 shown]
	s_waitcnt lgkmcnt(18)
	v_add_f64 v[163:164], v[29:30], v[45:46]
	v_add_f64 v[167:168], v[31:32], v[47:48]
	;; [unrolled: 1-line block ×3, first 2 shown]
	s_waitcnt lgkmcnt(15)
	v_add_f64 v[149:150], v[51:52], v[59:60]
	s_waitcnt lgkmcnt(13)
	v_add_f64 v[171:172], v[57:58], v[65:66]
	v_add_f64 v[173:174], v[59:60], -v[67:68]
	v_add_f64 v[59:60], v[59:60], v[67:68]
	v_add_f64 v[127:128], v[8:9], v[0:1]
	;; [unrolled: 1-line block ×3, first 2 shown]
	s_waitcnt lgkmcnt(12)
	v_add_f64 v[180:181], v[61:62], v[69:70]
	v_add_f64 v[183:184], v[63:64], v[71:72]
	;; [unrolled: 1-line block ×4, first 2 shown]
	s_waitcnt lgkmcnt(7)
	v_add_f64 v[189:190], v[81:82], v[89:90]
	v_add_f64 v[191:192], v[83:84], v[91:92]
	;; [unrolled: 1-line block ×3, first 2 shown]
	s_waitcnt lgkmcnt(6)
	v_add_f64 v[197:198], v[85:86], v[93:94]
	v_add_f64 v[155:156], v[53:54], v[61:62]
	;; [unrolled: 1-line block ×5, first 2 shown]
	s_waitcnt lgkmcnt(1)
	v_add_f64 v[205:206], v[105:106], v[119:120]
	v_add_f64 v[207:208], v[107:108], v[121:122]
	;; [unrolled: 1-line block ×6, first 2 shown]
	s_waitcnt lgkmcnt(0)
	v_add_f64 v[213:214], v[115:116], v[123:124]
	v_add_f64 v[215:216], v[117:118], v[125:126]
	;; [unrolled: 1-line block ×4, first 2 shown]
	v_add_f64 v[141:142], v[2:3], -v[35:36]
	v_add_f64 v[145:146], v[0:1], -v[33:34]
	v_fma_f64 v[8:9], v[139:140], -0.5, v[8:9]
	v_fma_f64 v[10:11], v[143:144], -0.5, v[10:11]
	v_add_f64 v[153:154], v[27:28], -v[43:44]
	v_add_f64 v[161:162], v[25:26], -v[41:42]
	v_add_f64 v[203:204], v[99:100], v[107:108]
	v_add_f64 v[209:210], v[101:102], v[115:116]
	;; [unrolled: 1-line block ×4, first 2 shown]
	v_fma_f64 v[16:17], v[151:152], -0.5, v[16:17]
	v_fma_f64 v[18:19], v[159:160], -0.5, v[18:19]
	v_add_f64 v[165:166], v[31:32], -v[47:48]
	v_add_f64 v[169:170], v[29:30], -v[45:46]
	v_add_f64 v[25:26], v[131:132], v[41:42]
	v_add_f64 v[27:28], v[133:134], v[43:44]
	v_fma_f64 v[41:42], v[163:164], -0.5, v[21:22]
	v_fma_f64 v[43:44], v[167:168], -0.5, v[23:24]
	v_add_f64 v[57:58], v[57:58], -v[65:66]
	v_add_f64 v[31:32], v[137:138], v[47:48]
	v_fma_f64 v[47:48], v[171:172], -0.5, v[49:50]
	v_fma_f64 v[51:52], v[59:60], -0.5, v[51:52]
	v_add_f64 v[63:64], v[63:64], -v[71:72]
	v_add_f64 v[61:62], v[61:62], -v[69:70]
	v_add_f64 v[0:1], v[127:128], v[33:34]
	v_add_f64 v[33:34], v[147:148], v[65:66]
	v_fma_f64 v[59:60], v[180:181], -0.5, v[53:54]
	v_fma_f64 v[65:66], v[183:184], -0.5, v[55:56]
	v_add_f64 v[83:84], v[83:84], -v[91:92]
	v_add_f64 v[225:226], v[39:40], -v[14:15]
	v_add_f64 v[2:3], v[129:130], v[35:36]
	v_add_f64 v[39:40], v[157:158], v[71:72]
	v_fma_f64 v[71:72], v[189:190], -0.5, v[73:74]
	v_add_f64 v[81:82], v[81:82], -v[89:90]
	v_fma_f64 v[73:74], v[191:192], -0.5, v[75:76]
	v_add_f64 v[29:30], v[135:136], v[45:46]
	v_add_f64 v[87:88], v[87:88], -v[95:96]
	v_add_f64 v[35:36], v[149:150], v[67:68]
	v_fma_f64 v[77:78], v[197:198], -0.5, v[77:78]
	v_add_f64 v[85:86], v[85:86], -v[93:94]
	v_add_f64 v[227:228], v[37:38], -v[12:13]
	v_add_f64 v[37:38], v[155:156], v[69:70]
	v_fma_f64 v[79:80], v[199:200], -0.5, v[79:80]
	v_add_f64 v[67:68], v[185:186], v[89:90]
	v_add_f64 v[107:108], v[107:108], -v[121:122]
	v_add_f64 v[89:90], v[195:196], v[95:96]
	v_fma_f64 v[95:96], v[205:206], -0.5, v[97:98]
	v_add_f64 v[105:106], v[105:106], -v[119:120]
	v_fma_f64 v[97:98], v[207:208], -0.5, v[99:100]
	v_add_f64 v[117:118], v[117:118], -v[125:126]
	v_add_f64 v[115:116], v[115:116], -v[123:124]
	v_add_f64 v[69:70], v[187:188], v[91:92]
	v_add_f64 v[75:76], v[193:194], v[93:94]
	;; [unrolled: 1-line block ×4, first 2 shown]
	v_fma_f64 v[101:102], v[213:214], -0.5, v[101:102]
	v_fma_f64 v[103:104], v[215:216], -0.5, v[103:104]
	;; [unrolled: 1-line block ×4, first 2 shown]
	v_fma_f64 v[4:5], v[141:142], s[4:5], v[8:9]
	v_fma_f64 v[6:7], v[145:146], s[6:7], v[10:11]
	;; [unrolled: 1-line block ×4, first 2 shown]
	v_add_f64 v[93:94], v[203:204], v[121:122]
	v_add_f64 v[99:100], v[209:210], v[123:124]
	;; [unrolled: 1-line block ×4, first 2 shown]
	v_fma_f64 v[12:13], v[153:154], s[4:5], v[16:17]
	v_fma_f64 v[14:15], v[161:162], s[6:7], v[18:19]
	;; [unrolled: 1-line block ×16, first 2 shown]
	s_barrier
	buffer_gl0_inv
	ds_write_b128 v109, v[0:3]
	ds_write_b128 v109, v[25:28] offset:4320
	ds_write_b128 v109, v[29:32] offset:8640
	;; [unrolled: 1-line block ×4, first 2 shown]
	ds_write_b64 v109, v[67:68] offset:21600
	v_fma_f64 v[0:1], v[83:84], s[4:5], v[71:72]
	v_fma_f64 v[2:3], v[83:84], s[6:7], v[71:72]
	;; [unrolled: 1-line block ×20, first 2 shown]
	ds_write_b64 v109, v[75:76] offset:25920
	ds_write_b128 v109, v[4:7] offset:16
	ds_write_b128 v109, v[8:11] offset:32
	;; [unrolled: 1-line block ×10, first 2 shown]
	ds_write2_b64 v112, v[69:70], v[0:1] offset1:1
	ds_write2_b64 v175, v[25:26], v[2:3] offset1:1
	ds_write_b64 v109, v[27:28] offset:21640
	ds_write2_b64 v176, v[89:90], v[29:30] offset1:1
	ds_write2_b64 v177, v[33:34], v[31:32] offset1:1
	ds_write_b64 v109, v[35:36] offset:25960
	ds_write_b64 v109, v[91:92] offset:30240
	ds_write2_b64 v178, v[93:94], v[37:38] offset1:1
	ds_write2_b64 v179, v[61:62], v[39:40] offset1:1
	ds_write_b64 v109, v[63:64] offset:30280
	;; [unrolled: 4-line block ×4, first 2 shown]
	s_waitcnt lgkmcnt(0)
	s_barrier
	buffer_gl0_inv
	s_clause 0x1
	global_load_dwordx4 v[0:3], v20, s[8:9]
	global_load_dwordx4 v[8:11], v20, s[8:9] offset:16
	v_add_nc_u32_e32 v108, 0x5a, v233
	global_load_dwordx4 v[16:19], v20, s[8:9] offset:32
	v_add_nc_u32_e32 v109, 0xb4, v233
	v_mov_b32_e32 v121, 0x1e0
	v_mov_b32_e32 v176, v233
	v_and_b32_e32 v112, 0xff, v108
	v_mul_lo_u16 v116, v111, 30
	v_mov_b32_e32 v120, 4
	v_mul_u32_u24_sdwa v113, v113, v121 dst_sel:DWORD dst_unused:UNUSED_PAD src0_sel:WORD_0 src1_sel:DWORD
	v_mov_b32_e32 v175, 4
	v_mul_lo_u16 v4, 0xab, v112
	v_sub_nc_u16 v116, v176, v116
	v_lshlrev_b32_sdwa v114, v120, v114 dst_sel:DWORD dst_unused:UNUSED_PAD src0_sel:DWORD src1_sel:BYTE_0
	v_lshrrev_b16 v117, 9, v4
	s_clause 0x5
	global_load_dwordx4 v[12:15], v20, s[8:9] offset:48
	global_load_dwordx4 v[4:7], v20, s[8:9] offset:64
	global_load_dwordx4 v[72:75], v20, s[8:9] offset:80
	global_load_dwordx4 v[68:71], v20, s[8:9] offset:96
	global_load_dwordx4 v[64:67], v20, s[8:9] offset:112
	global_load_dwordx4 v[60:63], v20, s[8:9] offset:128
	v_mul_lo_u16 v21, v117, 3
	v_mul_u32_u24_sdwa v129, v117, v121 dst_sel:DWORD dst_unused:UNUSED_PAD src0_sel:WORD_0 src1_sel:DWORD
	v_mul_u32_u24_sdwa v130, v116, v110 dst_sel:DWORD dst_unused:UNUSED_PAD src0_sel:BYTE_0 src1_sel:DWORD
	v_add3_u32 v117, 0, v113, v114
	v_sub_nc_u16 v115, v108, v21
	v_mov_b32_e32 v21, 0xaaab
	v_lshlrev_b32_e32 v113, 4, v130
	v_mul_u32_u24_sdwa v22, v115, v110 dst_sel:DWORD dst_unused:UNUSED_PAD src0_sel:BYTE_0 src1_sel:DWORD
	v_mul_u32_u24_sdwa v21, v109, v21 dst_sel:DWORD dst_unused:UNUSED_PAD src0_sel:WORD_0 src1_sel:DWORD
	v_lshlrev_b32_sdwa v115, v120, v115 dst_sel:DWORD dst_unused:UNUSED_PAD src0_sel:DWORD src1_sel:BYTE_0
	v_lshlrev_b32_e32 v28, 4, v22
	v_lshrrev_b32_e32 v118, 17, v21
	s_clause 0x3
	global_load_dwordx4 v[56:59], v28, s[8:9]
	global_load_dwordx4 v[48:51], v28, s[8:9] offset:16
	global_load_dwordx4 v[44:47], v28, s[8:9] offset:32
	;; [unrolled: 1-line block ×3, first 2 shown]
	v_mul_lo_u16 v20, v118, 3
	s_clause 0x1
	global_load_dwordx4 v[36:39], v28, s[8:9] offset:64
	global_load_dwordx4 v[24:27], v28, s[8:9] offset:80
	v_mul_u32_u24_e32 v118, 0x1e0, v118
	v_add3_u32 v115, 0, v129, v115
	v_sub_nc_u16 v119, v109, v20
	s_clause 0x1
	global_load_dwordx4 v[32:35], v28, s[8:9] offset:96
	global_load_dwordx4 v[20:23], v28, s[8:9] offset:112
	v_mul_u32_u24_sdwa v29, v119, v110 dst_sel:DWORD dst_unused:UNUSED_PAD src0_sel:WORD_0 src1_sel:DWORD
	v_lshlrev_b32_sdwa v119, v120, v119 dst_sel:DWORD dst_unused:UNUSED_PAD src0_sel:DWORD src1_sel:WORD_0
	v_lshlrev_b32_e32 v104, 4, v29
	s_clause 0x9
	global_load_dwordx4 v[28:31], v28, s[8:9] offset:128
	global_load_dwordx4 v[52:55], v104, s[8:9]
	global_load_dwordx4 v[76:79], v104, s[8:9] offset:16
	global_load_dwordx4 v[80:83], v104, s[8:9] offset:32
	;; [unrolled: 1-line block ×8, first 2 shown]
	ds_read_b128 v[121:124], v182 offset:4320
	ds_read_b128 v[125:128], v182 offset:8640
	v_add3_u32 v114, 0, v118, v119
	ds_read_b128 v[129:132], v182 offset:5760
	ds_read_b128 v[133:136], v182 offset:12960
	;; [unrolled: 1-line block ×24, first 2 shown]
	ds_read_b128 v[235:238], v182
	ds_read_b128 v[239:242], v182 offset:41760
	s_waitcnt vmcnt(26) lgkmcnt(27)
	v_mul_f64 v[118:119], v[123:124], v[2:3]
	v_mul_f64 v[2:3], v[121:122], v[2:3]
	s_waitcnt vmcnt(25) lgkmcnt(26)
	v_mul_f64 v[173:174], v[127:128], v[10:11]
	v_mul_f64 v[10:11], v[125:126], v[10:11]
	s_waitcnt vmcnt(24) lgkmcnt(24)
	v_mul_f64 v[180:181], v[135:136], v[18:19]
	v_mul_f64 v[18:19], v[133:134], v[18:19]
	s_waitcnt vmcnt(23) lgkmcnt(13)
	v_mul_f64 v[243:244], v[189:190], v[14:15]
	v_mul_f64 v[14:15], v[187:188], v[14:15]
	s_waitcnt vmcnt(22)
	v_mul_f64 v[245:246], v[143:144], v[6:7]
	v_fma_f64 v[118:119], v[121:122], v[0:1], v[118:119]
	v_fma_f64 v[121:122], v[123:124], v[0:1], -v[2:3]
	v_mul_f64 v[123:124], v[141:142], v[6:7]
	v_fma_f64 v[125:126], v[125:126], v[8:9], v[173:174]
	v_fma_f64 v[10:11], v[127:128], v[8:9], -v[10:11]
	s_waitcnt vmcnt(21) lgkmcnt(9)
	v_mul_f64 v[127:128], v[205:206], v[74:75]
	v_mul_f64 v[74:75], v[203:204], v[74:75]
	s_waitcnt vmcnt(20)
	v_mul_f64 v[173:174], v[151:152], v[70:71]
	v_fma_f64 v[133:134], v[133:134], v[16:17], v[180:181]
	v_fma_f64 v[16:17], v[135:136], v[16:17], -v[18:19]
	v_mul_f64 v[18:19], v[149:150], v[70:71]
	s_waitcnt vmcnt(19) lgkmcnt(5)
	v_mul_f64 v[70:71], v[221:222], v[66:67]
	v_mul_f64 v[66:67], v[219:220], v[66:67]
	s_waitcnt vmcnt(18)
	v_mul_f64 v[135:136], v[159:160], v[62:63]
	ds_read_b128 v[0:3], v182 offset:1440
	ds_read_b128 v[6:9], v182 offset:2880
	s_waitcnt vmcnt(0) lgkmcnt(0)
	s_barrier
	v_fma_f64 v[180:181], v[187:188], v[12:13], v[243:244]
	v_fma_f64 v[12:13], v[189:190], v[12:13], -v[14:15]
	v_mul_f64 v[14:15], v[157:158], v[62:63]
	v_mul_f64 v[62:63], v[131:132], v[58:59]
	v_mul_f64 v[58:59], v[129:130], v[58:59]
	v_mul_f64 v[187:188], v[171:172], v[50:51]
	v_fma_f64 v[141:142], v[141:142], v[4:5], v[245:246]
	v_fma_f64 v[4:5], v[143:144], v[4:5], -v[123:124]
	v_mul_f64 v[50:51], v[169:170], v[50:51]
	v_mul_f64 v[123:124], v[139:140], v[46:47]
	v_mul_f64 v[46:47], v[137:138], v[46:47]
	v_mul_f64 v[143:144], v[197:198], v[42:43]
	;; [unrolled: 6-line block ×9, first 2 shown]
	v_fma_f64 v[139:140], v[195:196], v[40:41], v[143:144]
	v_fma_f64 v[40:41], v[197:198], v[40:41], -v[42:43]
	v_fma_f64 v[74:75], v[145:146], v[36:37], v[74:75]
	v_fma_f64 v[36:37], v[147:148], v[36:37], -v[38:39]
	;; [unrolled: 2-line block ×13, first 2 shown]
	v_mul_f64 v[42:43], v[239:240], v[106:107]
	v_add_f64 v[92:93], v[235:236], v[125:126]
	v_add_f64 v[151:152], v[2:3], v[48:49]
	v_fma_f64 v[84:85], v[223:224], v[96:97], v[159:160]
	v_fma_f64 v[90:91], v[239:240], v[104:105], v[137:138]
	v_add_f64 v[94:95], v[237:238], v[10:11]
	v_add_f64 v[98:99], v[121:122], v[16:17]
	;; [unrolled: 1-line block ×9, first 2 shown]
	v_fma_f64 v[46:47], v[225:226], v[96:97], -v[46:47]
	v_add_f64 v[106:107], v[10:11], v[64:65]
	v_add_f64 v[173:174], v[125:126], -v[180:181]
	v_add_f64 v[183:184], v[125:126], -v[70:71]
	v_add_f64 v[157:158], v[68:69], v[80:81]
	v_add_f64 v[161:162], v[76:77], v[82:83]
	;; [unrolled: 1-line block ×4, first 2 shown]
	v_fma_f64 v[42:43], v[241:242], v[104:105], -v[42:43]
	v_add_f64 v[125:126], v[180:181], -v[125:126]
	v_add_f64 v[185:186], v[180:181], -v[127:128]
	;; [unrolled: 1-line block ×9, first 2 shown]
	v_add_f64 v[217:218], v[4:5], v[18:19]
	v_add_f64 v[221:222], v[4:5], -v[16:17]
	v_add_f64 v[223:224], v[16:17], -v[14:15]
	v_add_f64 v[16:17], v[16:17], v[14:15]
	v_add_f64 v[229:230], v[131:132], -v[139:140]
	v_add_f64 v[231:232], v[131:132], -v[34:35]
	;; [unrolled: 1-line block ×9, first 2 shown]
	v_add_f64 v[92:93], v[92:93], v[180:181]
	v_add_f64 v[180:181], v[44:45], -v[36:37]
	v_add_f64 v[40:41], v[151:152], v[40:41]
	v_add_f64 v[151:152], v[28:29], -v[32:33]
	v_add_f64 v[96:97], v[118:119], v[133:134]
	v_add_f64 v[104:105], v[12:13], v[72:73]
	;; [unrolled: 1-line block ×8, first 2 shown]
	v_add_f64 v[187:188], v[70:71], -v[127:128]
	v_add_f64 v[195:196], v[12:13], -v[72:73]
	;; [unrolled: 1-line block ×3, first 2 shown]
	v_add_f64 v[203:204], v[141:142], v[149:150]
	v_add_f64 v[209:210], v[133:134], -v[135:136]
	v_add_f64 v[133:134], v[133:134], v[135:136]
	v_add_f64 v[211:212], v[135:136], -v[149:150]
	v_add_f64 v[219:220], v[4:5], -v[18:19]
	v_add_f64 v[233:234], v[139:140], -v[38:39]
	v_add_f64 v[253:254], v[123:124], -v[74:75]
	v_fma_f64 v[100:101], v[100:101], -0.5, v[235:236]
	v_fma_f64 v[102:103], v[102:103], -0.5, v[235:236]
	v_add_f64 v[235:236], v[74:75], v[26:27]
	v_fma_f64 v[129:130], v[129:130], -0.5, v[0:1]
	v_fma_f64 v[0:1], v[137:138], -0.5, v[0:1]
	;; [unrolled: 1-line block ×4, first 2 shown]
	v_add_f64 v[143:144], v[74:75], -v[123:124]
	v_add_f64 v[145:146], v[123:124], -v[22:23]
	v_add_f64 v[123:124], v[123:124], v[22:23]
	v_fma_f64 v[157:158], v[157:158], -0.5, v[6:7]
	v_fma_f64 v[6:7], v[159:160], -0.5, v[6:7]
	;; [unrolled: 1-line block ×4, first 2 shown]
	v_add_f64 v[163:164], v[26:27], -v[22:23]
	v_add_f64 v[12:13], v[94:95], v[12:13]
	v_add_f64 v[94:95], v[36:37], v[32:33]
	;; [unrolled: 1-line block ×3, first 2 shown]
	v_add_f64 v[98:99], v[36:37], -v[44:45]
	v_add_f64 v[139:140], v[147:148], v[139:140]
	v_add_f64 v[147:148], v[44:45], -v[28:29]
	v_add_f64 v[44:45], v[44:45], v[28:29]
	v_add_f64 v[189:190], v[127:128], -v[70:71]
	v_add_f64 v[197:198], v[64:65], -v[72:73]
	;; [unrolled: 1-line block ×7, first 2 shown]
	v_fma_f64 v[217:218], v[217:218], -0.5, v[121:122]
	v_fma_f64 v[16:17], v[16:17], -0.5, v[121:122]
	v_add_f64 v[121:122], v[76:77], -v[60:61]
	v_add_f64 v[199:200], v[10:11], v[199:200]
	v_add_f64 v[10:11], v[82:83], -v[88:89]
	v_add_f64 v[207:208], v[207:208], v[213:214]
	v_add_f64 v[213:214], v[78:79], v[84:85]
	v_add_f64 v[229:230], v[229:230], v[239:240]
	v_add_f64 v[239:240], v[66:67], v[90:91]
	v_add_f64 v[151:152], v[180:181], v[151:152]
	v_add_f64 v[180:181], v[50:51], v[46:47]
	v_add_f64 v[131:132], v[131:132], v[241:242]
	v_add_f64 v[241:242], v[58:59], v[42:43]
	v_add_f64 v[205:206], v[141:142], -v[149:150]
	v_fma_f64 v[104:105], v[104:105], -0.5, v[237:238]
	v_fma_f64 v[106:107], v[106:107], -0.5, v[237:238]
	v_add_f64 v[237:238], v[74:75], -v[26:27]
	v_add_f64 v[96:97], v[96:97], v[141:142]
	v_add_f64 v[141:142], v[36:37], -v[32:33]
	v_add_f64 v[74:75], v[153:154], v[74:75]
	v_add_f64 v[36:37], v[155:156], v[36:37]
	;; [unrolled: 1-line block ×6, first 2 shown]
	v_add_f64 v[155:156], v[54:55], -v[68:69]
	v_add_f64 v[173:174], v[173:174], v[187:188]
	v_add_f64 v[187:188], v[54:55], -v[86:87]
	v_add_f64 v[54:55], v[68:69], -v[54:55]
	v_add_f64 v[201:202], v[201:202], v[211:212]
	v_add_f64 v[211:212], v[80:81], -v[86:87]
	v_fma_f64 v[203:204], v[203:204], -0.5, v[118:119]
	v_fma_f64 v[118:119], v[133:134], -0.5, v[118:119]
	;; [unrolled: 1-line block ×6, first 2 shown]
	v_add_f64 v[123:124], v[50:51], -v[58:59]
	v_add_f64 v[143:144], v[143:144], v[163:164]
	v_add_f64 v[163:164], v[46:47], -v[42:43]
	v_add_f64 v[153:154], v[32:33], -v[28:29]
	v_add_f64 v[191:192], v[191:192], v[197:198]
	v_add_f64 v[197:198], v[86:87], -v[80:81]
	v_add_f64 v[215:216], v[215:216], v[225:226]
	;; [unrolled: 2-line block ×3, first 2 shown]
	v_add_f64 v[189:190], v[88:89], -v[82:83]
	v_add_f64 v[133:134], v[66:67], -v[78:79]
	v_add_f64 v[221:222], v[221:222], v[227:228]
	v_add_f64 v[227:228], v[78:79], -v[66:67]
	v_add_f64 v[243:244], v[243:244], v[249:250]
	v_add_f64 v[249:250], v[90:91], -v[84:85]
	v_add_f64 v[161:162], v[253:254], v[161:162]
	v_add_f64 v[253:254], v[58:59], -v[50:51]
	v_add_f64 v[56:57], v[42:43], -v[46:47]
	v_add_f64 v[48:49], v[48:49], v[251:252]
	v_add_f64 v[251:252], v[84:85], -v[90:91]
	v_add_f64 v[76:77], v[76:77], -v[82:83]
	;; [unrolled: 1-line block ×5, first 2 shown]
	v_fma_f64 v[180:181], v[180:181], -0.5, v[52:53]
	v_fma_f64 v[52:53], v[241:242], -0.5, v[52:53]
	v_add_f64 v[121:122], v[121:122], v[10:11]
	v_fma_f64 v[10:11], v[213:214], -0.5, v[30:31]
	v_fma_f64 v[30:31], v[239:240], -0.5, v[30:31]
	v_add_f64 v[68:69], v[68:69], -v[80:81]
	v_add_f64 v[60:61], v[60:61], -v[88:89]
	v_add_f64 v[92:93], v[92:93], v[127:128]
	v_add_f64 v[12:13], v[12:13], v[72:73]
	;; [unrolled: 1-line block ×11, first 2 shown]
	v_fma_f64 v[74:75], v[195:196], s[10:11], v[102:103]
	v_fma_f64 v[80:81], v[195:196], s[14:15], v[102:103]
	;; [unrolled: 1-line block ×6, first 2 shown]
	v_add_f64 v[58:59], v[58:59], -v[42:43]
	v_add_f64 v[72:73], v[96:97], v[149:150]
	v_fma_f64 v[96:97], v[185:186], s[14:15], v[106:107]
	v_fma_f64 v[106:107], v[205:206], s[14:15], v[16:17]
	;; [unrolled: 1-line block ×4, first 2 shown]
	v_add_f64 v[54:55], v[54:55], v[211:212]
	v_add_f64 v[123:124], v[123:124], v[163:164]
	v_fma_f64 v[102:103], v[183:184], s[10:11], v[104:105]
	v_fma_f64 v[149:150], v[219:220], s[10:11], v[118:119]
	;; [unrolled: 1-line block ×11, first 2 shown]
	v_add_f64 v[98:99], v[98:99], v[153:154]
	v_add_f64 v[153:154], v[155:156], v[197:198]
	;; [unrolled: 1-line block ×6, first 2 shown]
	v_fma_f64 v[169:170], v[245:246], s[14:15], v[129:130]
	v_fma_f64 v[129:130], v[245:246], s[10:11], v[129:130]
	;; [unrolled: 1-line block ×24, first 2 shown]
	v_add_f64 v[12:13], v[12:13], v[64:65]
	v_add_f64 v[14:15], v[4:5], v[14:15]
	;; [unrolled: 1-line block ×9, first 2 shown]
	v_fma_f64 v[36:37], v[193:194], s[16:17], v[74:75]
	v_fma_f64 v[38:39], v[193:194], s[12:13], v[80:81]
	;; [unrolled: 1-line block ×4, first 2 shown]
	v_add_f64 v[70:71], v[92:93], v[70:71]
	v_fma_f64 v[92:93], v[58:59], s[14:15], v[10:11]
	v_fma_f64 v[10:11], v[58:59], s[10:11], v[10:11]
	;; [unrolled: 1-line block ×3, first 2 shown]
	v_add_f64 v[64:65], v[72:73], v[135:136]
	v_add_f64 v[32:33], v[40:41], v[90:91]
	v_fma_f64 v[72:73], v[209:210], s[16:17], v[16:17]
	v_fma_f64 v[88:89], v[205:206], s[16:17], v[139:140]
	v_fma_f64 v[80:81], v[223:224], s[12:13], v[118:119]
	v_fma_f64 v[90:91], v[185:186], s[12:13], v[102:103]
	v_fma_f64 v[118:119], v[231:232], s[12:13], v[171:172]
	v_fma_f64 v[127:128], v[231:232], s[16:17], v[2:3]
	v_fma_f64 v[135:136], v[145:146], s[12:13], v[203:204]
	v_fma_f64 v[44:45], v[145:146], s[16:17], v[44:45]
	v_fma_f64 v[145:146], v[237:238], s[12:13], v[211:212]
	v_fma_f64 v[104:105], v[183:184], s[14:15], v[104:105]
	v_fma_f64 v[94:95], v[237:238], s[16:17], v[94:95]
	v_fma_f64 v[82:83], v[195:196], s[16:17], v[82:83]
	v_fma_f64 v[102:103], v[219:220], s[12:13], v[165:166]
	v_fma_f64 v[129:130], v[247:248], s[12:13], v[129:130]
	v_fma_f64 v[165:166], v[60:61], s[16:17], v[227:228]
	v_fma_f64 v[60:61], v[60:61], s[12:13], v[6:7]
	v_fma_f64 v[171:172], v[66:67], s[12:13], v[249:250]
	v_fma_f64 v[52:53], v[66:67], s[16:17], v[52:53]
	v_fma_f64 v[66:67], v[58:59], s[16:17], v[253:254]
	v_fma_f64 v[30:31], v[58:59], s[12:13], v[30:31]
	v_fma_f64 v[58:59], v[78:79], s[12:13], v[251:252]
	v_fma_f64 v[40:41], v[183:184], s[12:13], v[96:97]
	v_fma_f64 v[100:101], v[219:220], s[16:17], v[163:164]
	v_fma_f64 v[106:107], v[245:246], s[12:13], v[0:1]
	v_fma_f64 v[139:140], v[147:148], s[16:17], v[213:214]
	v_fma_f64 v[62:63], v[147:148], s[12:13], v[62:63]
	v_fma_f64 v[147:148], v[247:248], s[16:17], v[169:170]
	v_fma_f64 v[137:138], v[233:234], s[16:17], v[137:138]
	v_fma_f64 v[169:170], v[187:188], s[16:17], v[8:9]
	v_fma_f64 v[78:79], v[78:79], s[16:17], v[180:181]
	v_fma_f64 v[180:181], v[76:77], s[16:17], v[235:236]
	v_fma_f64 v[76:77], v[76:77], s[12:13], v[157:158]
	v_fma_f64 v[157:158], v[68:69], s[12:13], v[241:242]
	v_fma_f64 v[68:69], v[68:69], s[16:17], v[159:160]
	v_add_f64 v[2:3], v[12:13], v[14:15]
	v_add_f64 v[6:7], v[12:13], -v[14:15]
	v_add_f64 v[8:9], v[18:19], v[22:23]
	v_add_f64 v[12:13], v[18:19], -v[22:23]
	;; [unrolled: 2-line block ×3, first 2 shown]
	v_fma_f64 v[28:29], v[125:126], s[18:19], v[36:37]
	v_fma_f64 v[36:37], v[125:126], s[18:19], v[38:39]
	v_fma_f64 v[38:39], v[199:200], s[18:19], v[42:43]
	v_fma_f64 v[42:43], v[215:216], s[18:19], v[86:87]
	v_fma_f64 v[74:75], v[223:224], s[16:17], v[149:150]
	v_fma_f64 v[92:93], v[50:51], s[16:17], v[92:93]
	v_fma_f64 v[50:51], v[50:51], s[12:13], v[10:11]
	v_add_f64 v[10:11], v[20:21], v[24:25]
	v_add_f64 v[14:15], v[20:21], -v[24:25]
	v_fma_f64 v[24:25], v[221:222], s[18:19], v[46:47]
	v_add_f64 v[16:17], v[26:27], v[32:33]
	v_add_f64 v[20:21], v[26:27], -v[32:33]
	v_fma_f64 v[26:27], v[221:222], s[18:19], v[72:73]
	v_fma_f64 v[46:47], v[215:216], s[18:19], v[88:89]
	;; [unrolled: 1-line block ×3, first 2 shown]
	v_add_f64 v[0:1], v[70:71], v[64:65]
	v_fma_f64 v[72:73], v[191:192], s[18:19], v[90:91]
	v_fma_f64 v[88:89], v[48:49], s[18:19], v[118:119]
	;; [unrolled: 1-line block ×7, first 2 shown]
	v_add_f64 v[4:5], v[70:71], -v[64:65]
	v_fma_f64 v[141:142], v[141:142], s[12:13], v[225:226]
	v_fma_f64 v[94:95], v[151:152], s[18:19], v[94:95]
	;; [unrolled: 1-line block ×17, first 2 shown]
	v_mul_f64 v[68:69], v[42:43], s[16:17]
	v_mul_f64 v[42:43], v[42:43], s[22:23]
	v_fma_f64 v[34:35], v[207:208], s[18:19], v[74:75]
	v_fma_f64 v[123:124], v[153:154], s[18:19], v[76:77]
	v_mul_f64 v[76:77], v[24:25], s[14:15]
	v_mul_f64 v[24:25], v[24:25], s[18:19]
	;; [unrolled: 1-line block ×4, first 2 shown]
	v_fma_f64 v[84:85], v[195:196], s[12:13], v[84:85]
	v_fma_f64 v[58:59], v[133:134], s[18:19], v[92:93]
	;; [unrolled: 1-line block ×3, first 2 shown]
	v_mul_f64 v[133:134], v[46:47], s[16:17]
	v_mul_f64 v[46:47], v[46:47], s[24:25]
	buffer_gl0_inv
	v_fma_f64 v[104:105], v[245:246], s[16:17], v[167:168]
	v_fma_f64 v[149:150], v[233:234], s[12:13], v[197:198]
	;; [unrolled: 1-line block ×3, first 2 shown]
	ds_write_b128 v117, v[0:3]
	ds_write_b128 v117, v[4:7] offset:240
	v_mul_f64 v[0:1], v[98:99], s[16:17]
	v_mul_f64 v[2:3], v[98:99], s[22:23]
	v_fma_f64 v[74:75], v[191:192], s[18:19], v[96:97]
	v_fma_f64 v[96:97], v[143:144], s[18:19], v[139:140]
	v_mul_f64 v[4:5], v[48:49], s[14:15]
	v_mul_f64 v[6:7], v[48:49], s[18:19]
	v_fma_f64 v[62:63], v[143:144], s[18:19], v[62:63]
	v_mul_f64 v[48:49], v[44:45], s[14:15]
	v_mul_f64 v[44:45], v[44:45], s[20:21]
	;; [unrolled: 3-line block ×3, first 2 shown]
	v_mul_f64 v[139:140], v[54:55], s[16:17]
	v_mul_f64 v[54:55], v[54:55], s[22:23]
	v_fma_f64 v[167:168], v[187:188], s[12:13], v[239:240]
	v_fma_f64 v[66:67], v[189:190], s[18:19], v[66:67]
	v_mul_f64 v[141:142], v[60:61], s[14:15]
	v_mul_f64 v[60:61], v[60:61], s[18:19]
	v_fma_f64 v[30:31], v[189:190], s[18:19], v[30:31]
	v_mul_f64 v[143:144], v[52:53], s[14:15]
	v_mul_f64 v[52:53], v[52:53], s[20:21]
	v_mul_f64 v[145:146], v[56:57], s[16:17]
	v_mul_f64 v[56:57], v[56:57], s[24:25]
	v_fma_f64 v[68:69], v[80:81], s[22:23], v[68:69]
	v_fma_f64 v[42:43], v[80:81], s[12:13], v[42:43]
	;; [unrolled: 1-line block ×32, first 2 shown]
	v_add_f64 v[0:1], v[64:65], v[68:69]
	v_add_f64 v[2:3], v[72:73], v[42:43]
	;; [unrolled: 1-line block ×4, first 2 shown]
	v_add_f64 v[30:31], v[32:33], -v[34:35]
	v_add_f64 v[32:33], v[36:37], v[78:79]
	v_add_f64 v[34:35], v[38:39], v[40:41]
	v_add_f64 v[6:7], v[72:73], -v[42:43]
	v_add_f64 v[38:39], v[38:39], -v[40:41]
	v_add_f64 v[40:41], v[70:71], v[80:81]
	v_add_f64 v[42:43], v[74:75], v[46:47]
	v_add_f64 v[4:5], v[64:65], -v[68:69]
	v_add_f64 v[28:29], v[28:29], -v[76:77]
	;; [unrolled: 1-line block ×5, first 2 shown]
	v_add_f64 v[48:49], v[100:101], v[82:83]
	v_add_f64 v[50:51], v[104:105], v[118:119]
	;; [unrolled: 1-line block ×8, first 2 shown]
	v_add_f64 v[52:53], v[100:101], -v[82:83]
	v_add_f64 v[54:55], v[104:105], -v[118:119]
	;; [unrolled: 1-line block ×8, first 2 shown]
	v_add_f64 v[80:81], v[92:93], v[125:126]
	v_add_f64 v[82:83], v[131:132], v[139:140]
	;; [unrolled: 1-line block ×6, first 2 shown]
	v_add_f64 v[84:85], v[92:93], -v[125:126]
	v_add_f64 v[86:87], v[131:132], -v[139:140]
	;; [unrolled: 1-line block ×6, first 2 shown]
	v_add_f64 v[104:105], v[123:124], v[145:146]
	v_add_f64 v[106:107], v[137:138], v[155:156]
	v_add_f64 v[121:122], v[123:124], -v[145:146]
	v_add_f64 v[123:124], v[137:138], -v[155:156]
	ds_write_b128 v117, v[0:3] offset:48
	ds_write_b128 v117, v[24:27] offset:96
	;; [unrolled: 1-line block ×8, first 2 shown]
	ds_write_b128 v115, v[8:11]
	ds_write_b128 v115, v[48:51] offset:48
	ds_write_b128 v115, v[56:59] offset:96
	;; [unrolled: 1-line block ×9, first 2 shown]
	ds_write_b128 v114, v[16:19]
	ds_write_b128 v114, v[80:83] offset:48
	ds_write_b128 v114, v[88:91] offset:96
	;; [unrolled: 1-line block ×9, first 2 shown]
	v_mul_lo_u16 v12, 0x89, v112
	s_waitcnt lgkmcnt(0)
	s_barrier
	buffer_gl0_inv
	s_clause 0x2
	global_load_dwordx4 v[8:11], v113, s[8:9] offset:432
	global_load_dwordx4 v[4:7], v113, s[8:9] offset:448
	;; [unrolled: 1-line block ×3, first 2 shown]
	v_lshrrev_b16 v112, 12, v12
	s_clause 0x3
	global_load_dwordx4 v[32:35], v113, s[8:9] offset:480
	global_load_dwordx4 v[28:31], v113, s[8:9] offset:496
	global_load_dwordx4 v[24:27], v113, s[8:9] offset:512
	global_load_dwordx4 v[16:19], v113, s[8:9] offset:528
	v_mov_b32_e32 v123, v176
	v_mul_lo_u16 v12, v112, 30
	v_mov_b32_e32 v125, 0
	v_lshlrev_b32_e32 v117, 1, v108
	v_mov_b32_e32 v132, 0x6d3b
	v_lshlrev_b32_e32 v124, 1, v123
	v_sub_nc_u16 v121, v108, v12
	s_clause 0x1
	global_load_dwordx4 v[20:23], v113, s[8:9] offset:544
	global_load_dwordx4 v[12:15], v113, s[8:9] offset:560
	v_add_nc_u32_e32 v126, 0x21c, v123
	v_add_nc_u32_e32 v127, 0x276, v123
	v_mov_b32_e32 v118, v125
	v_mul_u32_u24_sdwa v36, v121, v110 dst_sel:DWORD dst_unused:UNUSED_PAD src0_sel:BYTE_0 src1_sel:DWORD
	v_add_nc_u32_e32 v181, 0x10e, v123
	v_subrev_nc_u32_e32 v119, 30, v123
	v_cmp_gt_u32_e64 s0, 30, v123
	v_lshlrev_b64 v[114:115], 4, v[124:125]
	v_lshlrev_b32_e32 v40, 4, v36
	v_mov_b32_e32 v36, 0x8889
	v_lshlrev_b32_e32 v108, 1, v109
	v_lshrrev_b16 v134, 2, v126
	v_lshrrev_b16 v135, 2, v127
	s_clause 0x1
	global_load_dwordx4 v[72:75], v40, s[8:9] offset:432
	global_load_dwordx4 v[68:71], v40, s[8:9] offset:448
	v_mul_u32_u24_sdwa v36, v109, v36 dst_sel:DWORD dst_unused:UNUSED_PAD src0_sel:WORD_0 src1_sel:DWORD
	s_clause 0x3
	global_load_dwordx4 v[64:67], v40, s[8:9] offset:464
	global_load_dwordx4 v[56:59], v40, s[8:9] offset:480
	;; [unrolled: 1-line block ×4, first 2 shown]
	v_lshlrev_b64 v[137:138], 4, v[117:118]
	v_lshrrev_b32_e32 v113, 20, v36
	v_cndmask_b32_e64 v139, v119, v181, s0
	v_add_nc_u32_e32 v128, 0x78, v124
	v_mov_b32_e32 v129, v125
	v_add_nc_u32_e32 v130, 0x12c, v124
	v_mul_lo_u16 v36, v113, 30
	v_mov_b32_e32 v131, v125
	v_mul_u32_u24_sdwa v117, v134, v132 dst_sel:DWORD dst_unused:UNUSED_PAD src0_sel:WORD_0 src1_sel:DWORD
	v_add_co_u32 v134, s0, s8, v114
	v_sub_nc_u16 v122, v109, v36
	s_clause 0x1
	global_load_dwordx4 v[44:47], v40, s[8:9] offset:528
	global_load_dwordx4 v[36:39], v40, s[8:9] offset:544
	v_mov_b32_e32 v109, v125
	v_add_nc_u32_e32 v120, 0x2d0, v123
	v_add_nc_u32_e32 v133, 0x32a, v123
	v_mul_u32_u24_sdwa v41, v122, v110 dst_sel:DWORD dst_unused:UNUSED_PAD src0_sel:WORD_0 src1_sel:DWORD
	v_mul_u32_u24_sdwa v176, v135, v132 dst_sel:DWORD dst_unused:UNUSED_PAD src0_sel:WORD_0 src1_sel:DWORD
	v_lshlrev_b64 v[108:109], 4, v[108:109]
	v_add_co_ci_u32_e64 v135, s0, s9, v115, s0
	v_lshlrev_b32_e32 v104, 4, v41
	s_clause 0x9
	global_load_dwordx4 v[40:43], v40, s[8:9] offset:560
	global_load_dwordx4 v[60:63], v104, s[8:9] offset:432
	global_load_dwordx4 v[76:79], v104, s[8:9] offset:448
	global_load_dwordx4 v[80:83], v104, s[8:9] offset:464
	global_load_dwordx4 v[84:87], v104, s[8:9] offset:480
	global_load_dwordx4 v[88:91], v104, s[8:9] offset:496
	global_load_dwordx4 v[92:95], v104, s[8:9] offset:512
	global_load_dwordx4 v[100:103], v104, s[8:9] offset:544
	global_load_dwordx4 v[96:99], v104, s[8:9] offset:528
	global_load_dwordx4 v[104:107], v104, s[8:9] offset:560
	buffer_store_dword v139, off, s[28:31], 0 offset:8 ; 4-byte Folded Spill
	v_lshlrev_b32_e32 v118, 1, v139
	v_lshlrev_b64 v[139:140], 4, v[128:129]
	v_lshlrev_b64 v[141:142], 4, v[130:131]
	v_add_co_u32 v130, s0, s8, v137
	v_mov_b32_e32 v110, 0x12c0
	v_mov_b32_e32 v119, v125
	v_add_co_ci_u32_e64 v131, s0, s9, v138, s0
	v_add_co_u32 v128, s0, s8, v108
	v_lshrrev_b16 v143, 2, v120
	v_lshrrev_b16 v144, 2, v133
	v_add_co_ci_u32_e64 v129, s0, s9, v109, s0
	v_mul_u32_u24_sdwa v150, v111, v110 dst_sel:DWORD dst_unused:UNUSED_PAD src0_sel:WORD_0 src1_sel:DWORD
	v_mul_u32_u24_e32 v179, 0x12c0, v113
	v_lshlrev_b64 v[113:114], 4, v[118:119]
	v_add_co_u32 v111, s0, s8, v139
	v_add_co_ci_u32_e64 v115, s0, s9, v140, s0
	v_mul_u32_u24_sdwa v177, v143, v132 dst_sel:DWORD dst_unused:UNUSED_PAD src0_sel:WORD_0 src1_sel:DWORD
	v_mul_u32_u24_sdwa v178, v144, v132 dst_sel:DWORD dst_unused:UNUSED_PAD src0_sel:WORD_0 src1_sel:DWORD
	v_lshrrev_b32_e32 v132, 21, v117
	v_add_co_u32 v117, s0, s8, v141
	v_add_co_ci_u32_e64 v118, s0, s9, v142, s0
	v_add_co_u32 v119, s0, s8, v113
	v_add_co_ci_u32_e64 v137, s0, s9, v114, s0
	;; [unrolled: 2-line block ×3, first 2 shown]
	v_mul_u32_u24_sdwa v255, v112, v110 dst_sel:DWORD dst_unused:UNUSED_PAD src0_sel:WORD_0 src1_sel:DWORD
	v_add_co_u32 v112, s0, 0x1290, v111
	v_add_co_ci_u32_e64 v113, s0, 0, v115, s0
	v_add_co_u32 v110, s0, 0x1000, v117
	v_add_co_ci_u32_e64 v111, s0, 0, v118, s0
	;; [unrolled: 2-line block ×3, first 2 shown]
	v_lshlrev_b32_sdwa v151, v175, v116 dst_sel:DWORD dst_unused:UNUSED_PAD src0_sel:DWORD src1_sel:BYTE_0
	v_add_co_u32 v116, s0, 0x1000, v119
	ds_read_b128 v[146:149], v182 offset:12960
	v_add_co_ci_u32_e64 v117, s0, 0, v137, s0
	ds_read_b128 v[138:141], v182 offset:4320
	ds_read_b128 v[142:145], v182 offset:8640
	v_add_co_u32 v118, s0, 0x1290, v119
	v_add_co_ci_u32_e64 v119, s0, 0, v137, s0
	v_add3_u32 v137, 0, v150, v151
	ds_read_b128 v[150:153], v182 offset:17280
	ds_read_b128 v[154:157], v182 offset:25920
	;; [unrolled: 1-line block ×18, first 2 shown]
	v_lshrrev_b32_e32 v176, 21, v176
	v_lshrrev_b32_e32 v177, 21, v177
	v_mov_b32_e32 v180, 4
	v_add_co_u32 v249, s0, 0x1000, v134
	v_mul_lo_u16 v176, 0x12c, v176
	v_mul_lo_u16 v177, 0x12c, v177
	v_lshlrev_b32_sdwa v122, v180, v122 dst_sel:DWORD dst_unused:UNUSED_PAD src0_sel:DWORD src1_sel:WORD_0
	v_add_co_ci_u32_e64 v250, s0, 0, v135, s0
	v_mov_b32_e32 v136, 5
	v_lshrrev_b32_e32 v178, 21, v178
	v_add3_u32 v179, 0, v179, v122
	v_mul_lo_u16 v122, 0x12c, v132
	v_mul_lo_u16 v178, 0x12c, v178
	s_waitcnt vmcnt(26) lgkmcnt(19)
	v_mul_f64 v[174:175], v[140:141], v[10:11]
	v_mul_f64 v[10:11], v[138:139], v[10:11]
	s_waitcnt vmcnt(24)
	v_mul_f64 v[233:234], v[148:149], v[2:3]
	v_mul_f64 v[235:236], v[146:147], v[2:3]
	s_waitcnt vmcnt(23) lgkmcnt(17)
	v_mul_f64 v[237:238], v[152:153], v[34:35]
	v_mul_f64 v[231:232], v[144:145], v[6:7]
	;; [unrolled: 1-line block ×4, first 2 shown]
	s_waitcnt vmcnt(22) lgkmcnt(12)
	v_mul_f64 v[239:240], v[172:173], v[30:31]
	v_mul_f64 v[30:31], v[170:171], v[30:31]
	s_waitcnt vmcnt(21)
	v_mul_f64 v[241:242], v[156:157], v[26:27]
	v_mul_f64 v[243:244], v[154:155], v[26:27]
	s_waitcnt vmcnt(20) lgkmcnt(10)
	v_mul_f64 v[245:246], v[189:190], v[18:19]
	v_mul_f64 v[18:19], v[187:188], v[18:19]
	v_fma_f64 v[174:175], v[138:139], v[8:9], v[174:175]
	v_fma_f64 v[10:11], v[140:141], v[8:9], -v[10:11]
	v_fma_f64 v[146:147], v[146:147], v[0:1], v[233:234]
	v_fma_f64 v[0:1], v[148:149], v[0:1], -v[235:236]
	v_fma_f64 v[148:149], v[150:151], v[32:33], v[237:238]
	s_waitcnt vmcnt(18) lgkmcnt(7)
	v_mul_f64 v[150:151], v[201:202], v[14:15]
	s_waitcnt vmcnt(17)
	v_mul_f64 v[233:234], v[164:165], v[74:75]
	v_mul_f64 v[74:75], v[162:163], v[74:75]
	v_fma_f64 v[231:232], v[142:143], v[4:5], v[231:232]
	v_fma_f64 v[247:248], v[144:145], v[4:5], -v[6:7]
	ds_read_b128 v[2:5], v182 offset:27360
	ds_read_b128 v[6:9], v182 offset:28800
	v_fma_f64 v[34:35], v[152:153], v[32:33], -v[34:35]
	v_mul_f64 v[152:153], v[199:200], v[14:15]
	s_waitcnt vmcnt(16) lgkmcnt(7)
	v_mul_f64 v[235:236], v[209:210], v[70:71]
	v_mul_f64 v[70:71], v[207:208], v[70:71]
	s_waitcnt vmcnt(15)
	v_mul_f64 v[237:238], v[168:169], v[66:67]
	v_mul_f64 v[66:67], v[166:167], v[66:67]
	ds_read_b128 v[138:141], v182 offset:33120
	v_fma_f64 v[170:171], v[170:171], v[28:29], v[239:240]
	v_fma_f64 v[172:173], v[172:173], v[28:29], -v[30:31]
	ds_read_b128 v[26:29], v182 offset:36000
	ds_read_b128 v[30:33], v182 offset:37440
	v_mul_f64 v[142:143], v[160:161], v[22:23]
	v_mul_f64 v[144:145], v[158:159], v[22:23]
	v_fma_f64 v[154:155], v[154:155], v[24:25], v[241:242]
	v_fma_f64 v[156:157], v[156:157], v[24:25], -v[243:244]
	v_fma_f64 v[187:188], v[187:188], v[16:17], v[245:246]
	v_fma_f64 v[189:190], v[189:190], v[16:17], -v[18:19]
	v_fma_f64 v[150:151], v[199:200], v[12:13], v[150:151]
	s_waitcnt vmcnt(13)
	v_mul_f64 v[199:200], v[185:186], v[54:55]
	v_mul_f64 v[54:55], v[183:184], v[54:55]
	v_fma_f64 v[162:163], v[162:163], v[72:73], v[233:234]
	v_fma_f64 v[72:73], v[164:165], v[72:73], -v[74:75]
	s_waitcnt vmcnt(12) lgkmcnt(4)
	v_mul_f64 v[74:75], v[4:5], v[50:51]
	v_mul_f64 v[50:51], v[2:3], v[50:51]
	v_fma_f64 v[12:13], v[201:202], v[12:13], -v[152:153]
	v_mul_f64 v[152:153], v[221:222], v[58:59]
	v_mul_f64 v[58:59], v[219:220], v[58:59]
	s_waitcnt vmcnt(11)
	v_mul_f64 v[164:165], v[193:194], v[46:47]
	v_mul_f64 v[46:47], v[191:192], v[46:47]
	v_fma_f64 v[201:202], v[207:208], v[68:69], v[235:236]
	v_fma_f64 v[68:69], v[209:210], v[68:69], -v[70:71]
	s_waitcnt vmcnt(10) lgkmcnt(1)
	v_mul_f64 v[70:71], v[28:29], v[38:39]
	v_mul_f64 v[38:39], v[26:27], v[38:39]
	s_waitcnt vmcnt(9)
	v_mul_f64 v[207:208], v[205:206], v[42:43]
	v_mul_f64 v[42:43], v[203:204], v[42:43]
	v_fma_f64 v[166:167], v[166:167], v[64:65], v[237:238]
	v_fma_f64 v[64:65], v[168:169], v[64:65], -v[66:67]
	s_waitcnt vmcnt(8)
	v_mul_f64 v[66:67], v[197:198], v[62:63]
	v_mul_f64 v[62:63], v[195:196], v[62:63]
	s_waitcnt vmcnt(7)
	v_mul_f64 v[168:169], v[213:214], v[78:79]
	v_mul_f64 v[78:79], v[211:212], v[78:79]
	;; [unrolled: 3-line block ×3, first 2 shown]
	v_fma_f64 v[183:184], v[183:184], v[52:53], v[199:200]
	v_fma_f64 v[52:53], v[185:186], v[52:53], -v[54:55]
	s_waitcnt vmcnt(3)
	v_mul_f64 v[185:186], v[8:9], v[94:95]
	s_waitcnt vmcnt(2) lgkmcnt(0)
	v_mul_f64 v[199:200], v[32:33], v[102:103]
	v_fma_f64 v[2:3], v[2:3], v[48:49], v[74:75]
	v_fma_f64 v[4:5], v[4:5], v[48:49], -v[50:51]
	v_mul_f64 v[48:49], v[6:7], v[94:95]
	v_mul_f64 v[50:51], v[30:31], v[102:103]
	ds_read_b128 v[14:17], v182
	ds_read_b128 v[22:25], v182 offset:41760
	v_fma_f64 v[158:159], v[158:159], v[20:21], v[142:143]
	v_fma_f64 v[152:153], v[219:220], v[56:57], v[152:153]
	v_fma_f64 v[56:57], v[221:222], v[56:57], -v[58:59]
	v_mul_f64 v[58:59], v[217:218], v[82:83]
	v_mul_f64 v[82:83], v[215:216], v[82:83]
	;; [unrolled: 1-line block ×4, first 2 shown]
	s_waitcnt vmcnt(1)
	v_mul_f64 v[74:75], v[140:141], v[98:99]
	v_mul_f64 v[94:95], v[138:139], v[98:99]
	v_fma_f64 v[98:99], v[191:192], v[44:45], v[164:165]
	v_fma_f64 v[44:45], v[193:194], v[44:45], -v[46:47]
	v_fma_f64 v[26:27], v[26:27], v[36:37], v[70:71]
	v_fma_f64 v[28:29], v[28:29], v[36:37], -v[38:39]
	;; [unrolled: 2-line block ×5, first 2 shown]
	s_waitcnt vmcnt(0) lgkmcnt(0)
	v_mul_f64 v[46:47], v[24:25], v[106:107]
	v_mul_f64 v[102:103], v[22:23], v[106:107]
	v_fma_f64 v[70:71], v[223:224], v[84:85], v[209:210]
	v_fma_f64 v[76:77], v[225:226], v[84:85], -v[86:87]
	v_fma_f64 v[6:7], v[6:7], v[92:93], v[185:186]
	v_fma_f64 v[30:31], v[30:31], v[100:101], v[199:200]
	v_fma_f64 v[8:9], v[8:9], v[92:93], -v[48:49]
	v_fma_f64 v[32:33], v[32:33], v[100:101], -v[50:51]
	;; [unrolled: 1-line block ×3, first 2 shown]
	v_fma_f64 v[58:59], v[215:216], v[80:81], v[58:59]
	v_fma_f64 v[66:67], v[217:218], v[80:81], -v[82:83]
	v_fma_f64 v[48:49], v[227:228], v[88:89], v[54:55]
	v_fma_f64 v[50:51], v[229:230], v[88:89], -v[90:91]
	v_fma_f64 v[54:55], v[138:139], v[96:97], v[74:75]
	v_add_f64 v[80:81], v[148:149], v[154:155]
	v_add_f64 v[82:83], v[231:232], v[158:159]
	;; [unrolled: 1-line block ×5, first 2 shown]
	ds_read_b128 v[18:21], v182 offset:1440
	ds_read_b128 v[142:145], v182 offset:2880
	v_fma_f64 v[74:75], v[140:141], v[96:97], -v[94:95]
	v_add_f64 v[84:85], v[34:35], v[156:157]
	v_fma_f64 v[22:23], v[22:23], v[104:105], v[46:47]
	v_fma_f64 v[24:25], v[24:25], v[104:105], -v[102:103]
	v_add_f64 v[94:95], v[68:69], v[28:29]
	v_add_f64 v[168:169], v[231:232], -v[148:149]
	v_add_f64 v[102:103], v[70:71], v[6:7]
	v_add_f64 v[104:105], v[60:61], v[30:31]
	;; [unrolled: 1-line block ×5, first 2 shown]
	v_add_f64 v[191:192], v[158:159], -v[154:155]
	v_add_f64 v[195:196], v[247:248], -v[34:35]
	;; [unrolled: 1-line block ×3, first 2 shown]
	v_add_f64 v[46:47], v[14:15], v[231:232]
	v_add_f64 v[185:186], v[148:149], -v[231:232]
	v_add_f64 v[193:194], v[154:155], -v[158:159]
	;; [unrolled: 1-line block ×3, first 2 shown]
	s_waitcnt lgkmcnt(1)
	v_add_f64 v[96:97], v[18:19], v[201:202]
	s_waitcnt lgkmcnt(0)
	v_add_f64 v[140:141], v[142:143], v[60:61]
	v_add_f64 v[164:165], v[144:145], v[62:63]
	v_add_f64 v[203:204], v[156:157], -v[160:161]
	v_add_f64 v[205:206], v[146:147], -v[170:171]
	;; [unrolled: 1-line block ×17, first 2 shown]
	v_fma_f64 v[80:81], v[80:81], -0.5, v[14:15]
	v_fma_f64 v[14:15], v[82:83], -0.5, v[14:15]
	v_add_f64 v[82:83], v[166:167], -v[183:184]
	v_fma_f64 v[88:89], v[88:89], -0.5, v[18:19]
	v_fma_f64 v[18:19], v[90:91], -0.5, v[18:19]
	;; [unrolled: 1-line block ×3, first 2 shown]
	v_add_f64 v[92:93], v[36:37], -v[98:99]
	v_fma_f64 v[102:103], v[102:103], -0.5, v[142:143]
	v_fma_f64 v[104:105], v[104:105], -0.5, v[142:143]
	;; [unrolled: 1-line block ×4, first 2 shown]
	v_add_f64 v[142:143], v[64:65], -v[52:53]
	v_add_f64 v[144:145], v[38:39], -v[44:45]
	v_add_f64 v[78:79], v[16:17], v[247:248]
	v_add_f64 v[100:101], v[20:21], v[68:69]
	;; [unrolled: 1-line block ×6, first 2 shown]
	v_fma_f64 v[84:85], v[84:85], -0.5, v[16:17]
	v_fma_f64 v[16:17], v[86:87], -0.5, v[16:17]
	v_add_f64 v[86:87], v[183:184], -v[166:167]
	v_fma_f64 v[20:21], v[94:95], -0.5, v[20:21]
	v_add_f64 v[94:95], v[98:99], -v[36:37]
	v_add_f64 v[168:169], v[168:169], v[191:192]
	v_add_f64 v[191:192], v[52:53], -v[64:65]
	v_add_f64 v[195:196], v[195:196], v[199:200]
	;; [unrolled: 2-line block ×16, first 2 shown]
	v_add_f64 v[199:200], v[54:55], -v[22:23]
	v_fma_f64 v[207:208], v[207:208], -0.5, v[174:175]
	v_fma_f64 v[211:212], v[211:212], -0.5, v[174:175]
	v_add_f64 v[174:175], v[174:175], v[146:147]
	v_fma_f64 v[219:220], v[219:220], -0.5, v[10:11]
	v_fma_f64 v[223:224], v[223:224], -0.5, v[10:11]
	v_add_f64 v[10:11], v[10:11], v[0:1]
	v_add_f64 v[193:194], v[213:214], v[193:194]
	v_add_f64 v[213:214], v[50:51], -v[66:67]
	v_add_f64 v[215:216], v[215:216], v[227:228]
	v_add_f64 v[227:228], v[74:75], -v[24:25]
	v_add_f64 v[235:236], v[235:236], v[243:244]
	v_add_f64 v[243:244], v[183:184], v[98:99]
	;; [unrolled: 1-line block ×12, first 2 shown]
	v_add_f64 v[148:149], v[148:149], -v[154:155]
	v_add_f64 v[34:35], v[34:35], -v[156:157]
	v_add_f64 v[86:87], v[174:175], v[170:171]
	v_add_f64 v[100:101], v[100:101], v[56:57]
	v_add_f64 v[170:171], v[170:171], -v[187:188]
	v_add_f64 v[10:11], v[10:11], v[172:173]
	v_add_f64 v[172:173], v[172:173], -v[189:190]
	v_add_f64 v[152:153], v[152:153], -v[2:3]
	;; [unrolled: 1-line block ×3, first 2 shown]
	v_add_f64 v[174:175], v[213:214], v[227:228]
	v_add_f64 v[146:147], v[146:147], -v[150:151]
	v_fma_f64 v[227:228], v[243:244], -0.5, v[162:163]
	v_add_f64 v[0:1], v[0:1], -v[12:13]
	v_add_f64 v[201:202], v[201:202], -v[26:27]
	v_fma_f64 v[243:244], v[82:83], -0.5, v[162:163]
	v_add_f64 v[82:83], v[162:163], v[166:167]
	v_fma_f64 v[162:163], v[225:226], -0.5, v[72:73]
	v_add_f64 v[46:47], v[46:47], v[154:155]
	;; [unrolled: 2-line block ×3, first 2 shown]
	v_add_f64 v[154:155], v[48:49], v[54:55]
	v_add_f64 v[78:79], v[78:79], v[156:157]
	;; [unrolled: 1-line block ×9, first 2 shown]
	v_add_f64 v[166:167], v[166:167], -v[36:37]
	v_add_f64 v[68:69], v[68:69], -v[28:29]
	v_add_f64 v[64:65], v[64:65], -v[38:39]
	v_add_f64 v[60:61], v[60:61], -v[30:31]
	v_add_f64 v[62:63], v[62:63], -v[32:33]
	s_waitcnt_vscnt null, 0x0
	s_barrier
	buffer_gl0_inv
	v_add_f64 v[82:83], v[82:83], v[183:184]
	v_add_f64 v[183:184], v[183:184], -v[98:99]
	v_add_f64 v[46:47], v[46:47], v[158:159]
	v_add_co_u32 v213, s0, 0x1290, v134
	v_add_f64 v[72:73], v[72:73], v[52:53]
	v_fma_f64 v[96:97], v[154:155], -0.5, v[40:41]
	v_fma_f64 v[100:101], v[156:157], -0.5, v[40:41]
	v_add_f64 v[40:41], v[40:41], v[58:59]
	v_add_f64 v[52:53], v[52:53], -v[44:45]
	v_fma_f64 v[154:155], v[86:87], -0.5, v[42:43]
	v_sub_nc_u16 v86, v126, v122
	v_lshlrev_b32_sdwa v87, v180, v121 dst_sel:DWORD dst_unused:UNUSED_PAD src0_sel:DWORD src1_sel:BYTE_0
	v_fma_f64 v[156:157], v[189:190], -0.5, v[42:43]
	v_add_f64 v[42:43], v[42:43], v[66:67]
	v_add_f64 v[121:122], v[164:165], v[76:77]
	v_add_f64 v[164:165], v[231:232], -v[158:159]
	v_add_f64 v[76:77], v[76:77], -v[8:9]
	;; [unrolled: 1-line block ×3, first 2 shown]
	v_fma_f64 v[158:159], v[170:171], s[14:15], v[223:224]
	v_fma_f64 v[223:224], v[170:171], s[10:11], v[223:224]
	v_add_f64 v[78:79], v[78:79], v[160:161]
	v_add_f64 v[98:99], v[82:83], v[98:99]
	;; [unrolled: 1-line block ×3, first 2 shown]
	v_fma_f64 v[187:188], v[172:173], s[10:11], v[211:212]
	v_fma_f64 v[211:212], v[172:173], s[14:15], v[211:212]
	v_add_f64 v[66:67], v[66:67], -v[24:25]
	v_add_f64 v[44:45], v[72:73], v[44:45]
	v_sub_nc_u16 v72, v127, v176
	v_sub_nc_u16 v73, v120, v177
	v_add_f64 v[40:41], v[40:41], v[48:49]
	v_add_f64 v[48:49], v[48:49], -v[54:55]
	v_add_f64 v[10:11], v[10:11], v[12:13]
	v_and_b32_e32 v82, 0xffff, v72
	v_and_b32_e32 v83, 0xffff, v73
	v_add_f64 v[72:73], v[140:141], v[70:71]
	v_add_f64 v[42:43], v[42:43], v[50:51]
	v_add_f64 v[140:141], v[247:248], -v[160:161]
	v_add_f64 v[70:71], v[70:71], -v[6:7]
	v_add_f64 v[8:9], v[121:122], v[8:9]
	v_add_f64 v[50:51], v[50:51], -v[74:75]
	v_fma_f64 v[121:122], v[164:165], s[10:11], v[84:85]
	v_fma_f64 v[84:85], v[164:165], s[14:15], v[84:85]
	;; [unrolled: 1-line block ×6, first 2 shown]
	v_add3_u32 v177, 0, v255, v87
	v_add_f64 v[28:29], v[4:5], v[28:29]
	v_fma_f64 v[4:5], v[68:69], s[14:15], v[88:89]
	v_fma_f64 v[87:88], v[68:69], s[10:11], v[88:89]
	v_add_f64 v[38:39], v[44:45], v[38:39]
	v_add_f64 v[40:41], v[40:41], v[54:55]
	v_fma_f64 v[54:55], v[34:35], s[10:11], v[14:15]
	v_fma_f64 v[14:15], v[34:35], s[14:15], v[14:15]
	;; [unrolled: 1-line block ×4, first 2 shown]
	v_add_f64 v[6:7], v[72:73], v[6:7]
	v_add_f64 v[42:43], v[42:43], v[74:75]
	v_fma_f64 v[72:73], v[140:141], s[14:15], v[80:81]
	v_fma_f64 v[74:75], v[140:141], s[10:11], v[80:81]
	;; [unrolled: 1-line block ×4, first 2 shown]
	v_add_f64 v[32:33], v[8:9], v[32:33]
	v_fma_f64 v[8:9], v[166:167], s[10:11], v[162:163]
	v_fma_f64 v[162:163], v[166:167], s[14:15], v[162:163]
	;; [unrolled: 1-line block ×10, first 2 shown]
	v_add_f64 v[22:23], v[40:41], v[22:23]
	v_fma_f64 v[40:41], v[52:53], s[10:11], v[243:244]
	v_fma_f64 v[54:55], v[140:141], s[16:17], v[54:55]
	;; [unrolled: 1-line block ×4, first 2 shown]
	v_add_f64 v[30:31], v[6:7], v[30:31]
	v_fma_f64 v[6:7], v[183:184], s[14:15], v[225:226]
	v_fma_f64 v[225:226], v[183:184], s[10:11], v[225:226]
	;; [unrolled: 1-line block ×6, first 2 shown]
	v_add_f64 v[24:25], v[42:43], v[24:25]
	v_fma_f64 v[42:43], v[64:65], s[14:15], v[227:228]
	v_fma_f64 v[227:228], v[64:65], s[10:11], v[227:228]
	;; [unrolled: 1-line block ×7, first 2 shown]
	v_add_f64 v[26:27], v[2:3], v[26:27]
	v_fma_f64 v[2:3], v[56:57], s[10:11], v[18:19]
	v_fma_f64 v[80:81], v[164:165], s[12:13], v[80:81]
	;; [unrolled: 1-line block ×10, first 2 shown]
	v_add_f64 v[36:37], v[98:99], v[36:37]
	v_fma_f64 v[98:99], v[152:153], s[14:15], v[20:21]
	v_fma_f64 v[20:21], v[152:153], s[10:11], v[20:21]
	;; [unrolled: 1-line block ×33, first 2 shown]
	v_add_f64 v[0:1], v[46:47], v[150:151]
	v_add_f64 v[2:3], v[78:79], v[10:11]
	v_add_f64 v[6:7], v[78:79], -v[10:11]
	v_add_f64 v[10:11], v[28:29], v[38:39]
	v_add_f64 v[14:15], v[28:29], -v[38:39]
	v_fma_f64 v[28:29], v[185:186], s[18:19], v[54:55]
	v_fma_f64 v[54:55], v[217:218], s[18:19], v[160:161]
	;; [unrolled: 1-line block ×5, first 2 shown]
	v_add_f64 v[4:5], v[46:47], -v[150:151]
	v_add_f64 v[16:17], v[30:31], v[22:23]
	v_add_f64 v[18:19], v[32:33], v[24:25]
	v_add_f64 v[20:21], v[30:31], -v[22:23]
	v_add_f64 v[22:23], v[32:33], -v[24:25]
	v_fma_f64 v[24:25], v[221:222], s[18:19], v[158:159]
	v_fma_f64 v[70:71], v[70:71], s[16:17], v[106:107]
	;; [unrolled: 1-line block ×3, first 2 shown]
	v_add_f64 v[8:9], v[26:27], v[36:37]
	v_add_f64 v[12:13], v[26:27], -v[36:37]
	v_fma_f64 v[26:27], v[221:222], s[18:19], v[146:147]
	v_fma_f64 v[78:79], v[217:218], s[18:19], v[170:171]
	;; [unrolled: 1-line block ×19, first 2 shown]
	ds_write_b128 v137, v[0:3]
	ds_write_b128 v137, v[4:7] offset:2400
	v_mul_f64 v[0:1], v[54:55], s[16:17]
	v_mul_f64 v[2:3], v[54:55], s[22:23]
	v_fma_f64 v[32:33], v[209:210], s[18:19], v[187:188]
	v_mul_f64 v[4:5], v[24:25], s[14:15]
	v_mul_f64 v[6:7], v[24:25], s[18:19]
	v_fma_f64 v[46:47], v[209:210], s[18:19], v[211:212]
	v_mul_f64 v[24:25], v[26:27], s[14:15]
	v_mul_f64 v[26:27], v[26:27], s[20:21]
	v_fma_f64 v[30:31], v[197:198], s[18:19], v[80:81]
	v_fma_f64 v[80:81], v[168:169], s[18:19], v[34:35]
	v_fma_f64 v[34:35], v[195:196], s[18:19], v[121:122]
	v_fma_f64 v[121:122], v[205:206], s[18:19], v[172:173]
	v_mul_f64 v[54:55], v[78:79], s[16:17]
	v_mul_f64 v[74:75], v[78:79], s[24:25]
	v_fma_f64 v[42:43], v[92:93], s[18:19], v[42:43]
	v_fma_f64 v[162:163], v[237:238], s[18:19], v[60:61]
	;; [unrolled: 1-line block ×4, first 2 shown]
	v_mul_f64 v[76:77], v[94:95], s[16:17]
	v_mul_f64 v[78:79], v[94:95], s[22:23]
	v_fma_f64 v[158:159], v[203:204], s[18:19], v[89:90]
	v_mul_f64 v[89:90], v[150:151], s[14:15]
	v_mul_f64 v[93:94], v[150:151], s[18:19]
	v_fma_f64 v[38:39], v[197:198], s[18:19], v[164:165]
	v_fma_f64 v[91:92], v[193:194], s[18:19], v[100:101]
	;; [unrolled: 1-line block ×5, first 2 shown]
	v_mul_f64 v[102:103], v[152:153], s[14:15]
	v_mul_f64 v[106:107], v[152:153], s[20:21]
	;; [unrolled: 1-line block ×10, first 2 shown]
	v_fma_f64 v[72:73], v[168:169], s[18:19], v[72:73]
	v_fma_f64 v[50:51], v[235:236], s[18:19], v[50:51]
	v_mul_f64 v[166:167], v[48:49], s[16:17]
	v_mul_f64 v[48:49], v[48:49], s[24:25]
	v_fma_f64 v[168:169], v[96:97], s[22:23], v[0:1]
	v_fma_f64 v[95:96], v[96:97], s[12:13], v[2:3]
	;; [unrolled: 1-line block ×33, first 2 shown]
	v_add_f64 v[0:1], v[72:73], v[168:169]
	v_add_f64 v[2:3], v[34:35], v[95:96]
	;; [unrolled: 1-line block ×4, first 2 shown]
	v_add_f64 v[6:7], v[34:35], -v[95:96]
	v_add_f64 v[30:31], v[30:31], -v[32:33]
	v_add_f64 v[32:33], v[36:37], v[172:173]
	v_add_f64 v[34:35], v[38:39], v[46:47]
	;; [unrolled: 1-line block ×4, first 2 shown]
	v_add_f64 v[4:5], v[72:73], -v[168:169]
	v_add_f64 v[28:29], v[28:29], -v[170:171]
	;; [unrolled: 1-line block ×6, first 2 shown]
	v_add_co_ci_u32_e64 v214, s0, 0, v135, s0
	v_add_f64 v[48:49], v[154:155], v[76:77]
	v_add_f64 v[50:51], v[56:57], v[78:79]
	v_add_co_u32 v245, s0, 0x1000, v130
	v_add_f64 v[54:55], v[56:57], -v[78:79]
	v_add_f64 v[56:57], v[140:141], v[89:90]
	v_add_f64 v[58:59], v[98:99], v[93:94]
	;; [unrolled: 1-line block ×4, first 2 shown]
	v_add_co_ci_u32_e64 v246, s0, 0, v131, s0
	v_add_f64 v[72:73], v[156:157], v[121:122]
	v_add_f64 v[74:75], v[87:88], v[138:139]
	v_add_co_u32 v251, s0, 0x1290, v130
	v_add_f64 v[52:53], v[154:155], -v[76:77]
	v_add_co_ci_u32_e64 v252, s0, 0, v131, s0
	v_add_f64 v[60:61], v[140:141], -v[89:90]
	v_add_f64 v[62:63], v[98:99], -v[93:94]
	v_add_co_u32 v189, s0, 0x1000, v128
	v_add_f64 v[68:69], v[68:69], -v[102:103]
	v_add_f64 v[70:71], v[146:147], -v[106:107]
	v_lshlrev_b32_sdwa v136, v136, v86 dst_sel:DWORD dst_unused:UNUSED_PAD src0_sel:DWORD src1_sel:WORD_0
	v_add_f64 v[76:77], v[156:157], -v[121:122]
	v_add_f64 v[78:79], v[87:88], -v[138:139]
	v_add_co_ci_u32_e64 v190, s0, 0, v129, s0
	v_add_co_u32 v253, s0, 0x1290, v128
	v_add_f64 v[87:88], v[91:92], v[142:143]
	v_add_f64 v[89:90], v[100:101], v[144:145]
	;; [unrolled: 1-line block ×4, first 2 shown]
	v_add_co_ci_u32_e64 v254, s0, 0, v129, s0
	v_add_f64 v[93:94], v[100:101], -v[144:145]
	v_add_f64 v[101:102], v[104:105], -v[174:175]
	v_add_f64 v[103:104], v[160:161], v[152:153]
	v_add_f64 v[105:106], v[162:163], v[183:184]
	v_sub_nc_u16 v176, v133, v178
	v_add_f64 v[91:92], v[91:92], -v[142:143]
	v_add_f64 v[99:100], v[158:159], -v[150:151]
	;; [unrolled: 1-line block ×4, first 2 shown]
	v_add_f64 v[142:143], v[148:149], v[166:167]
	v_add_f64 v[144:145], v[164:165], v[185:186]
	v_add_f64 v[146:147], v[148:149], -v[166:167]
	v_add_f64 v[148:149], v[164:165], -v[185:186]
	ds_write_b128 v137, v[0:3] offset:480
	ds_write_b128 v137, v[24:27] offset:960
	;; [unrolled: 1-line block ×8, first 2 shown]
	ds_write_b128 v177, v[8:11]
	ds_write_b128 v177, v[48:51] offset:480
	ds_write_b128 v177, v[56:59] offset:960
	;; [unrolled: 1-line block ×9, first 2 shown]
	ds_write_b128 v179, v[16:19]
	ds_write_b128 v179, v[87:90] offset:480
	ds_write_b128 v179, v[95:98] offset:960
	;; [unrolled: 1-line block ×9, first 2 shown]
	v_add_co_u32 v2, s0, s8, v136
	v_add_co_ci_u32_e64 v3, null, s9, 0, s0
	v_lshlrev_b32_e32 v0, 5, v82
	v_and_b32_e32 v87, 0xffff, v176
	v_add_co_u32 v8, s0, 0x1000, v2
	v_add_co_ci_u32_e64 v9, s0, 0, v3, s0
	v_lshlrev_b32_e32 v1, 5, v83
	v_add_co_u32 v0, s0, s8, v0
	v_lshlrev_b32_e32 v4, 5, v87
	v_add_co_ci_u32_e64 v5, null, s9, 0, s0
	v_add_co_u32 v10, s0, 0x1290, v2
	v_add_co_ci_u32_e64 v11, s0, 0, v3, s0
	v_add_co_u32 v20, s0, s8, v1
	v_add_co_ci_u32_e64 v21, null, s9, 0, s0
	v_add_co_u32 v42, s0, s8, v4
	v_add_co_ci_u32_e64 v43, null, s9, 0, s0
	v_add_co_u32 v12, s0, 0x1000, v0
	v_add_co_ci_u32_e64 v13, s0, 0, v5, s0
	v_add_co_u32 v14, s0, 0x1290, v0
	v_add_co_ci_u32_e64 v15, s0, 0, v5, s0
	;; [unrolled: 2-line block ×5, first 2 shown]
	v_add_co_u32 v52, s0, 0x1290, v42
	v_mov_b32_e32 v81, v123
	v_add_co_ci_u32_e64 v53, s0, 0, v43, s0
	s_waitcnt lgkmcnt(0)
	s_barrier
	buffer_gl0_inv
	s_clause 0x13
	global_load_dwordx4 v[56:59], v[249:250], off offset:656
	global_load_dwordx4 v[72:75], v[245:246], off offset:656
	;; [unrolled: 1-line block ×20, first 2 shown]
	buffer_store_dword v81, off, s[28:31], 0 offset:24 ; 4-byte Folded Spill
	buffer_store_dword v82, off, s[28:31], 0 offset:28 ; 4-byte Folded Spill
	buffer_load_dword v91, off, s[28:31], 0 offset:8 ; 4-byte Folded Reload
	v_mov_b32_e32 v84, v123
	v_mov_b32_e32 v85, v125
	v_add_nc_u32_e32 v80, 0x2d0, v124
	v_mov_b32_e32 v81, v125
	v_add_nc_u32_e32 v124, 0x384, v124
	v_cmp_lt_u32_e64 s0, 29, v84
	v_lshlrev_b32_e32 v84, 1, v181
	v_mov_b32_e32 v180, 4
	v_lshlrev_b64 v[93:94], 4, v[80:81]
	v_lshlrev_b64 v[89:90], 4, v[124:125]
	v_cndmask_b32_e64 v88, 0, 0x3840, s0
	v_add_co_u32 v221, s0, 0x3810, v134
	v_add_co_ci_u32_e64 v222, s0, 0, v135, s0
	v_lshlrev_b32_e32 v124, 1, v126
	v_mul_u32_u24_e32 v97, 0x3840, v132
	v_lshlrev_b32_sdwa v86, v180, v86 dst_sel:DWORD dst_unused:UNUSED_PAD src0_sel:DWORD src1_sel:WORD_0
	v_lshl_add_u32 v227, v83, 4, 0
	v_add3_u32 v255, 0, v97, v86
	s_waitcnt vmcnt(0)
	v_lshlrev_b32_e32 v95, 4, v91
	v_lshlrev_b64 v[91:92], 4, v[84:85]
	v_add_co_u32 v84, s0, 0x3800, v134
	v_add_co_ci_u32_e64 v85, s0, 0, v135, s0
	v_add3_u32 v181, 0, v88, v95
	v_add_co_u32 v80, s0, s8, v91
	v_add_co_ci_u32_e64 v81, s0, s9, v92, s0
	v_add_co_u32 v91, s0, s8, v93
	v_add_co_ci_u32_e64 v92, s0, s9, v94, s0
	;; [unrolled: 2-line block ×7, first 2 shown]
	v_add_co_u32 v209, s0, 0x3800, v80
	v_lshlrev_b64 v[95:96], 4, v[124:125]
	v_lshlrev_b32_e32 v124, 1, v127
	v_add_co_ci_u32_e64 v210, s0, 0, v81, s0
	v_add_co_u32 v211, s0, 0x3810, v80
	v_add_co_ci_u32_e64 v212, s0, 0, v81, s0
	v_lshlrev_b64 v[89:90], 4, v[124:125]
	v_lshlrev_b32_e32 v124, 1, v120
	v_add_co_u32 v213, s0, 0x3800, v91
	v_add_co_ci_u32_e64 v214, s0, 0, v92, s0
	v_add_co_u32 v215, s0, 0x3810, v91
	v_add_co_ci_u32_e64 v216, s0, 0, v92, s0
	v_lshlrev_b64 v[91:92], 4, v[124:125]
	v_mov_b32_e32 v88, v125
	buffer_store_dword v91, off, s[28:31], 0 offset:8 ; 4-byte Folded Spill
	buffer_store_dword v92, off, s[28:31], 0 offset:12 ; 4-byte Folded Spill
	buffer_store_dword v87, off, s[28:31], 0 offset:32 ; 4-byte Folded Spill
	buffer_store_dword v88, off, s[28:31], 0 offset:36 ; 4-byte Folded Spill
	v_add_co_u32 v217, s0, 0x3800, v93
	v_add_co_ci_u32_e64 v218, s0, 0, v94, s0
	v_add_co_u32 v219, s0, 0x3810, v93
	v_add_co_ci_u32_e64 v220, s0, 0, v94, s0
	;; [unrolled: 2-line block ×3, first 2 shown]
	v_lshlrev_b32_e32 v124, 1, v133
	v_add_co_u32 v223, s0, 0x3800, v80
	v_add_co_ci_u32_e64 v224, s0, 0, v81, s0
	v_add_co_u32 v225, s0, 0x3810, v80
	v_add_co_ci_u32_e64 v226, s0, 0, v81, s0
	v_add_co_u32 v80, s0, s8, v89
	v_lshlrev_b64 v[88:89], 4, v[124:125]
	buffer_store_dword v88, off, s[28:31], 0 offset:16 ; 4-byte Folded Spill
	buffer_store_dword v89, off, s[28:31], 0 offset:20 ; 4-byte Folded Spill
	v_add_co_ci_u32_e64 v81, s0, s9, v90, s0
	ds_read_b128 v[89:92], v182 offset:14400
	ds_read_b128 v[93:96], v182 offset:28800
	ds_read_b128 v[97:100], v182 offset:15840
	ds_read_b128 v[101:104], v182 offset:17280
	ds_read_b128 v[105:108], v182 offset:30240
	ds_read_b128 v[109:112], v182 offset:31680
	ds_read_b128 v[113:116], v182 offset:18720
	ds_read_b128 v[117:120], v182 offset:20160
	ds_read_b128 v[121:124], v182 offset:33120
	ds_read_b128 v[125:128], v182 offset:34560
	ds_read_b128 v[129:132], v182 offset:21600
	ds_read_b128 v[133:136], v182 offset:23040
	ds_read_b128 v[137:140], v182 offset:12960
	ds_read_b128 v[141:144], v182 offset:36000
	ds_read_b128 v[145:148], v182 offset:37440
	ds_read_b128 v[149:152], v182 offset:27360
	v_lshl_add_u32 v88, v82, 4, 0
	ds_read_b128 v[153:156], v182 offset:24480
	ds_read_b128 v[157:160], v182 offset:25920
	;; [unrolled: 1-line block ×5, first 2 shown]
	ds_read_b128 v[183:186], v182
	ds_read_b128 v[187:190], v182 offset:1440
	ds_read_b128 v[191:194], v182 offset:2880
	ds_read_b128 v[195:198], v182 offset:4320
	ds_read_b128 v[199:202], v182 offset:5760
	v_add_co_u32 v229, s0, 0x3800, v80
	v_add_co_ci_u32_e64 v230, s0, 0, v81, s0
	s_waitcnt lgkmcnt(23)
	v_mul_f64 v[233:234], v[99:100], v[74:75]
	v_mul_f64 v[74:75], v[97:98], v[74:75]
	s_waitcnt lgkmcnt(21)
	v_mul_f64 v[235:236], v[107:108], v[66:67]
	v_mul_f64 v[66:67], v[105:106], v[66:67]
	;; [unrolled: 1-line block ×4, first 2 shown]
	s_waitcnt lgkmcnt(20)
	v_mul_f64 v[243:244], v[111:112], v[46:47]
	v_mul_f64 v[46:47], v[109:110], v[46:47]
	;; [unrolled: 1-line block ×4, first 2 shown]
	v_add_co_u32 v231, s0, 0x3810, v80
	v_add_co_ci_u32_e64 v232, s0, 0, v81, s0
	v_fma_f64 v[74:75], v[99:100], v[72:73], -v[74:75]
	s_waitcnt lgkmcnt(17)
	v_mul_f64 v[99:100], v[123:124], v[50:51]
	v_fma_f64 v[105:106], v[105:106], v[64:65], v[235:236]
	v_fma_f64 v[64:65], v[107:108], v[64:65], -v[66:67]
	v_mul_f64 v[50:51], v[121:122], v[50:51]
	v_mul_f64 v[66:67], v[119:120], v[38:39]
	;; [unrolled: 1-line block ×3, first 2 shown]
	s_waitcnt lgkmcnt(16)
	v_mul_f64 v[107:108], v[127:128], v[26:27]
	v_mul_f64 v[26:27], v[125:126], v[26:27]
	v_fma_f64 v[101:102], v[101:102], v[68:69], v[237:238]
	v_fma_f64 v[68:69], v[103:104], v[68:69], -v[239:240]
	s_waitcnt lgkmcnt(15)
	v_mul_f64 v[103:104], v[131:132], v[6:7]
	v_mul_f64 v[6:7], v[129:130], v[6:7]
	v_fma_f64 v[109:110], v[109:110], v[44:45], v[243:244]
	v_fma_f64 v[44:45], v[111:112], v[44:45], -v[46:47]
	s_waitcnt lgkmcnt(14)
	v_mul_f64 v[46:47], v[135:136], v[18:19]
	v_mul_f64 v[18:19], v[133:134], v[18:19]
	s_waitcnt lgkmcnt(11)
	v_mul_f64 v[111:112], v[147:148], v[10:11]
	v_mul_f64 v[10:11], v[145:146], v[10:11]
	v_fma_f64 v[82:83], v[89:90], v[56:57], v[82:83]
	v_fma_f64 v[241:242], v[91:92], v[56:57], -v[58:59]
	ds_read_b128 v[56:59], v182 offset:7200
	ds_read_b128 v[89:92], v182 offset:8640
	v_fma_f64 v[99:100], v[121:122], v[48:49], v[99:100]
	v_fma_f64 v[48:49], v[123:124], v[48:49], -v[50:51]
	s_waitcnt lgkmcnt(10)
	v_mul_f64 v[50:51], v[159:160], v[34:35]
	v_mul_f64 v[34:35], v[157:158], v[34:35]
	v_fma_f64 v[66:67], v[117:118], v[36:37], v[66:67]
	v_fma_f64 v[36:37], v[119:120], v[36:37], -v[38:39]
	v_mul_f64 v[38:39], v[151:152], v[42:43]
	v_mul_f64 v[42:43], v[149:150], v[42:43]
	s_waitcnt lgkmcnt(7)
	v_mul_f64 v[117:118], v[171:172], v[54:55]
	v_fma_f64 v[107:108], v[125:126], v[24:25], v[107:108]
	v_fma_f64 v[24:25], v[127:128], v[24:25], -v[26:27]
	v_mul_f64 v[26:27], v[169:170], v[54:55]
	v_fma_f64 v[54:55], v[129:130], v[4:5], v[103:104]
	v_fma_f64 v[4:5], v[131:132], v[4:5], -v[6:7]
	s_waitcnt lgkmcnt(4)
	v_add_f64 v[127:128], v[191:192], v[101:102]
	v_add_f64 v[123:124], v[193:194], v[68:69]
	v_lshl_add_u32 v228, v87, 4, 0
	v_mul_f64 v[86:87], v[95:96], v[62:63]
	v_mul_f64 v[62:63], v[93:94], v[62:63]
	v_fma_f64 v[86:87], v[93:94], v[60:61], v[86:87]
	v_fma_f64 v[93:94], v[95:96], v[60:61], -v[62:63]
	v_fma_f64 v[95:96], v[97:98], v[72:73], v[233:234]
	v_mul_f64 v[97:98], v[115:116], v[78:79]
	v_mul_f64 v[78:79], v[113:114], v[78:79]
	;; [unrolled: 1-line block ×4, first 2 shown]
	ds_read_b128 v[60:63], v182 offset:10080
	ds_read_b128 v[70:73], v182 offset:11520
	s_waitcnt lgkmcnt(0)
	s_waitcnt_vscnt null, 0x0
	s_barrier
	buffer_gl0_inv
	v_fma_f64 v[97:98], v[113:114], v[76:77], v[97:98]
	v_fma_f64 v[76:77], v[115:116], v[76:77], -v[78:79]
	v_mul_f64 v[78:79], v[155:156], v[22:23]
	v_mul_f64 v[22:23], v[153:154], v[22:23]
	;; [unrolled: 1-line block ×6, first 2 shown]
	v_fma_f64 v[103:104], v[141:142], v[0:1], v[233:234]
	v_fma_f64 v[119:120], v[143:144], v[0:1], -v[2:3]
	v_fma_f64 v[0:1], v[133:134], v[16:17], v[46:47]
	v_fma_f64 v[2:3], v[135:136], v[16:17], -v[18:19]
	;; [unrolled: 2-line block ×4, first 2 shown]
	v_add_f64 v[18:19], v[82:83], v[86:87]
	v_add_f64 v[42:43], v[189:190], v[74:75]
	;; [unrolled: 1-line block ×8, first 2 shown]
	v_fma_f64 v[6:7], v[153:154], v[20:21], v[78:79]
	v_fma_f64 v[8:9], v[155:156], v[20:21], -v[22:23]
	v_fma_f64 v[78:79], v[161:162], v[12:13], v[113:114]
	v_fma_f64 v[113:114], v[163:164], v[12:13], -v[14:15]
	v_fma_f64 v[12:13], v[159:160], v[32:33], -v[34:35]
	v_fma_f64 v[32:33], v[165:166], v[28:29], v[115:116]
	v_fma_f64 v[34:35], v[167:168], v[28:29], -v[30:31]
	v_fma_f64 v[14:15], v[149:150], v[40:41], v[38:39]
	v_fma_f64 v[40:41], v[169:170], v[52:53], v[117:118]
	v_fma_f64 v[38:39], v[171:172], v[52:53], -v[26:27]
	v_add_f64 v[20:21], v[241:242], v[93:94]
	v_add_f64 v[22:23], v[95:96], v[105:106]
	;; [unrolled: 1-line block ×13, first 2 shown]
	v_add_f64 v[117:118], v[241:242], -v[93:94]
	v_add_f64 v[163:164], v[6:7], v[78:79]
	v_add_f64 v[165:166], v[8:9], v[113:114]
	v_add_f64 v[82:83], v[82:83], -v[86:87]
	v_add_f64 v[145:146], v[201:202], v[36:37]
	v_add_f64 v[149:150], v[36:37], -v[24:25]
	;; [unrolled: 2-line block ×4, first 2 shown]
	v_add_f64 v[54:55], v[62:63], v[8:9]
	v_add_f64 v[233:234], v[10:11], v[32:33]
	;; [unrolled: 1-line block ×6, first 2 shown]
	v_fma_f64 v[183:184], v[18:19], -0.5, v[183:184]
	v_fma_f64 v[185:186], v[20:21], -0.5, v[185:186]
	v_add_f64 v[161:162], v[89:90], v[0:1]
	v_add_f64 v[129:130], v[197:198], v[76:77]
	v_add_f64 v[74:75], v[74:75], -v[64:65]
	v_add_f64 v[95:96], v[95:96], -v[105:106]
	v_fma_f64 v[187:188], v[22:23], -0.5, v[187:188]
	v_fma_f64 v[189:190], v[26:27], -0.5, v[189:190]
	v_add_f64 v[68:69], v[68:69], -v[44:45]
	v_add_f64 v[101:102], v[101:102], -v[109:110]
	v_add_f64 v[171:172], v[60:61], v[6:7]
	v_add_f64 v[237:238], v[0:1], -v[46:47]
	v_add_f64 v[249:250], v[6:7], -v[78:79]
	v_add_f64 v[0:1], v[30:31], v[86:87]
	v_add_f64 v[6:7], v[42:43], v[64:65]
	v_fma_f64 v[64:65], v[52:53], -0.5, v[191:192]
	v_fma_f64 v[86:87], v[115:116], -0.5, v[193:194]
	v_add_f64 v[76:77], v[76:77], -v[48:49]
	v_add_f64 v[97:98], v[97:98], -v[99:100]
	;; [unrolled: 1-line block ×4, first 2 shown]
	v_add_f64 v[2:3], v[28:29], v[93:94]
	v_add_f64 v[4:5], v[50:51], v[105:106]
	v_fma_f64 v[93:94], v[121:122], -0.5, v[195:196]
	v_fma_f64 v[105:106], v[125:126], -0.5, v[197:198]
	v_add_f64 v[239:240], v[72:73], v[12:13]
	v_add_f64 v[243:244], v[8:9], -v[113:114]
	v_add_f64 v[177:178], v[12:13], -v[34:35]
	v_add_f64 v[8:9], v[127:128], v[109:110]
	v_add_f64 v[12:13], v[131:132], v[99:100]
	v_fma_f64 v[99:100], v[133:134], -0.5, v[199:200]
	v_fma_f64 v[109:110], v[135:136], -0.5, v[201:202]
	v_add_f64 v[241:242], v[70:71], v[10:11]
	v_add_f64 v[179:180], v[10:11], -v[32:33]
	v_add_f64 v[10:11], v[123:124], v[44:45]
	v_fma_f64 v[115:116], v[141:142], -0.5, v[56:57]
	v_fma_f64 v[121:122], v[143:144], -0.5, v[58:59]
	;; [unrolled: 1-line block ×4, first 2 shown]
	v_add_f64 v[251:252], v[139:140], v[16:17]
	v_add_f64 v[175:176], v[16:17], -v[38:39]
	v_add_f64 v[16:17], v[147:148], v[107:108]
	v_add_f64 v[20:21], v[151:152], v[103:104]
	v_fma_f64 v[103:104], v[163:164], -0.5, v[60:61]
	v_fma_f64 v[107:108], v[165:166], -0.5, v[62:63]
	v_add_f64 v[80:81], v[14:15], -v[40:41]
	v_add_f64 v[22:23], v[36:37], v[119:120]
	v_add_f64 v[26:27], v[66:67], v[111:112]
	v_fma_f64 v[111:112], v[233:234], -0.5, v[70:71]
	v_fma_f64 v[119:120], v[235:236], -0.5, v[72:73]
	v_add_f64 v[30:31], v[54:55], v[113:114]
	v_fma_f64 v[113:114], v[245:246], -0.5, v[137:138]
	v_fma_f64 v[123:124], v[247:248], -0.5, v[139:140]
	v_add_f64 v[36:37], v[253:254], v[40:41]
	v_fma_f64 v[40:41], v[117:118], s[4:5], v[183:184]
	v_fma_f64 v[42:43], v[82:83], s[6:7], v[185:186]
	v_add_f64 v[18:19], v[145:146], v[24:25]
	v_add_f64 v[24:25], v[161:162], v[46:47]
	v_fma_f64 v[44:45], v[117:118], s[6:7], v[183:184]
	v_fma_f64 v[46:47], v[82:83], s[4:5], v[185:186]
	v_add_f64 v[14:15], v[129:130], v[48:49]
	v_fma_f64 v[48:49], v[74:75], s[4:5], v[187:188]
	v_fma_f64 v[50:51], v[95:96], s[6:7], v[189:190]
	;; [unrolled: 1-line block ×12, first 2 shown]
	ds_write_b128 v182, v[0:3]
	ds_write_b128 v182, v[4:7] offset:1440
	ds_write_b128 v182, v[8:11] offset:2880
	v_fma_f64 v[0:1], v[149:150], s[4:5], v[99:100]
	v_fma_f64 v[2:3], v[157:158], s[6:7], v[109:110]
	;; [unrolled: 1-line block ×8, first 2 shown]
	v_add_f64 v[28:29], v[171:172], v[78:79]
	v_fma_f64 v[76:77], v[169:170], s[4:5], v[89:90]
	v_fma_f64 v[78:79], v[237:238], s[6:7], v[91:92]
	;; [unrolled: 1-line block ×8, first 2 shown]
	v_add_f64 v[34:35], v[239:240], v[34:35]
	v_add_f64 v[32:33], v[241:242], v[32:33]
	v_add_f64 v[38:39], v[251:252], v[38:39]
	v_fma_f64 v[101:102], v[177:178], s[4:5], v[111:112]
	v_fma_f64 v[105:106], v[177:178], s[6:7], v[111:112]
	;; [unrolled: 1-line block ×8, first 2 shown]
	ds_write_b128 v182, v[40:43] offset:4800
	ds_write_b128 v182, v[44:47] offset:9600
	;; [unrolled: 1-line block ×6, first 2 shown]
	ds_write_b128 v181, v[12:15]
	ds_write_b128 v181, v[64:67] offset:4800
	ds_write_b128 v181, v[68:71] offset:9600
	;; [unrolled: 1-line block ×8, first 2 shown]
	ds_write_b128 v255, v[24:27]
	ds_write_b128 v255, v[76:79] offset:4800
	ds_write_b128 v255, v[89:92] offset:9600
	;; [unrolled: 1-line block ×11, first 2 shown]
	s_waitcnt lgkmcnt(0)
	s_barrier
	buffer_gl0_inv
	s_clause 0x3
	global_load_dwordx4 v[80:83], v[84:85], off offset:16
	global_load_dwordx4 v[76:79], v[221:222], off offset:16
	;; [unrolled: 1-line block ×4, first 2 shown]
	s_clause 0x1
	buffer_load_dword v0, off, s[28:31], 0 offset:8
	buffer_load_dword v1, off, s[28:31], 0 offset:12
	s_clause 0x9
	global_load_dwordx4 v[32:35], v[205:206], off offset:16
	global_load_dwordx4 v[12:15], v[207:208], off offset:16
	;; [unrolled: 1-line block ×10, first 2 shown]
	s_clause 0x1
	buffer_load_dword v28, off, s[28:31], 0 offset:16
	buffer_load_dword v29, off, s[28:31], 0 offset:20
	s_waitcnt vmcnt(13)
	v_add_co_u32 v2, s0, s8, v0
	s_waitcnt vmcnt(12)
	v_add_co_ci_u32_e64 v3, s0, s9, v1, s0
	v_add_co_u32 v0, s0, 0x3800, v2
	v_add_co_ci_u32_e64 v1, s0, 0, v3, s0
	v_add_co_u32 v2, s0, 0x3810, v2
	v_add_co_ci_u32_e64 v3, s0, 0, v3, s0
	s_waitcnt vmcnt(1)
	v_add_co_u32 v66, s0, s8, v28
	s_waitcnt vmcnt(0)
	v_add_co_ci_u32_e64 v67, s0, s9, v29, s0
	s_clause 0x1
	global_load_dwordx4 v[44:47], v[229:230], off offset:16
	global_load_dwordx4 v[28:31], v[231:232], off offset:16
	v_add_co_u32 v64, s0, 0x3800, v66
	v_add_co_ci_u32_e64 v65, s0, 0, v67, s0
	s_clause 0x1
	global_load_dwordx4 v[60:63], v[0:1], off offset:16
	global_load_dwordx4 v[56:59], v[2:3], off offset:16
	v_add_co_u32 v0, s0, 0x3810, v66
	v_add_co_ci_u32_e64 v1, s0, 0, v67, s0
	s_clause 0x1
	global_load_dwordx4 v[64:67], v[64:65], off offset:16
	global_load_dwordx4 v[72:75], v[0:1], off offset:16
	ds_read_b128 v[128:131], v182 offset:28800
	ds_read_b128 v[108:111], v182 offset:15840
	;; [unrolled: 1-line block ×21, first 2 shown]
	ds_read_b128 v[92:95], v182
	ds_read_b128 v[164:167], v182 offset:1440
	ds_read_b128 v[168:171], v182 offset:2880
	;; [unrolled: 1-line block ×8, first 2 shown]
	s_waitcnt lgkmcnt(24)
	v_mul_f64 v[176:177], v[150:151], v[82:83]
	v_mul_f64 v[82:83], v[148:149], v[82:83]
	v_mul_f64 v[178:179], v[130:131], v[78:79]
	v_mul_f64 v[78:79], v[128:129], v[78:79]
	v_mul_f64 v[207:208], v[110:111], v[70:71]
	v_mul_f64 v[70:71], v[108:109], v[70:71]
	v_mul_f64 v[209:210], v[98:99], v[54:55]
	v_mul_f64 v[54:55], v[96:97], v[54:55]
	v_mul_f64 v[211:212], v[86:87], v[34:35]
	v_mul_f64 v[34:35], v[84:85], v[34:35]
	v_mul_f64 v[213:214], v[90:91], v[14:15]
	v_mul_f64 v[14:15], v[88:89], v[14:15]
	s_waitcnt lgkmcnt(22)
	v_mul_f64 v[215:216], v[114:115], v[10:11]
	v_mul_f64 v[10:11], v[112:113], v[10:11]
	s_waitcnt lgkmcnt(20)
	v_mul_f64 v[217:218], v[118:119], v[6:7]
	v_mul_f64 v[6:7], v[116:117], v[6:7]
	;; [unrolled: 1-line block ×4, first 2 shown]
	s_waitcnt lgkmcnt(19)
	v_mul_f64 v[221:222], v[106:107], v[38:39]
	v_mul_f64 v[38:39], v[104:105], v[38:39]
	s_waitcnt lgkmcnt(18)
	v_mul_f64 v[223:224], v[122:123], v[22:23]
	v_mul_f64 v[22:23], v[120:121], v[22:23]
	;; [unrolled: 3-line block ×3, first 2 shown]
	v_fma_f64 v[148:149], v[148:149], v[80:81], v[176:177]
	v_fma_f64 v[80:81], v[150:151], v[80:81], -v[82:83]
	v_mul_f64 v[82:83], v[126:127], v[42:43]
	v_mul_f64 v[42:43], v[124:125], v[42:43]
	s_waitcnt lgkmcnt(15)
	v_mul_f64 v[150:151], v[138:139], v[26:27]
	v_fma_f64 v[128:129], v[128:129], v[76:77], v[178:179]
	v_fma_f64 v[76:77], v[130:131], v[76:77], -v[78:79]
	v_mul_f64 v[26:27], v[136:137], v[26:27]
	v_fma_f64 v[108:109], v[108:109], v[68:69], v[207:208]
	v_fma_f64 v[68:69], v[110:111], v[68:69], -v[70:71]
	v_fma_f64 v[96:97], v[96:97], v[52:53], v[209:210]
	v_fma_f64 v[52:53], v[98:99], v[52:53], -v[54:55]
	;; [unrolled: 2-line block ×3, first 2 shown]
	v_fma_f64 v[86:87], v[116:117], v[4:5], v[217:218]
	s_waitcnt vmcnt(0) lgkmcnt(0)
	s_barrier
	buffer_gl0_inv
	v_mul_f64 v[78:79], v[142:143], v[46:47]
	v_mul_f64 v[46:47], v[140:141], v[46:47]
	;; [unrolled: 1-line block ×12, first 2 shown]
	v_fma_f64 v[74:75], v[88:89], v[12:13], v[213:214]
	v_fma_f64 v[12:13], v[90:91], v[12:13], -v[14:15]
	v_fma_f64 v[14:15], v[112:113], v[8:9], v[215:216]
	v_fma_f64 v[8:9], v[114:115], v[8:9], -v[10:11]
	v_fma_f64 v[88:89], v[118:119], v[4:5], -v[6:7]
	v_fma_f64 v[4:5], v[100:101], v[48:49], v[219:220]
	v_fma_f64 v[6:7], v[102:103], v[48:49], -v[50:51]
	v_fma_f64 v[48:49], v[104:105], v[36:37], v[221:222]
	;; [unrolled: 2-line block ×12, first 2 shown]
	v_fma_f64 v[62:63], v[174:175], v[72:73], -v[34:35]
	v_add_f64 v[34:35], v[148:149], v[128:129]
	v_add_f64 v[64:65], v[80:81], v[76:77]
	;; [unrolled: 1-line block ×4, first 2 shown]
	v_add_f64 v[72:73], v[80:81], -v[76:77]
	v_add_f64 v[80:81], v[108:109], v[96:97]
	v_add_f64 v[82:83], v[68:69], v[52:53]
	;; [unrolled: 1-line block ×5, first 2 shown]
	v_add_f64 v[100:101], v[108:109], -v[96:97]
	v_add_f64 v[106:107], v[170:171], v[32:33]
	v_add_f64 v[108:109], v[168:169], v[84:85]
	v_add_f64 v[110:111], v[32:33], -v[12:13]
	v_add_f64 v[32:33], v[14:15], v[86:87]
	v_add_f64 v[112:113], v[8:9], v[88:89]
	;; [unrolled: 1-line block ×9, first 2 shown]
	v_add_f64 v[78:79], v[148:149], -v[128:129]
	v_add_f64 v[148:149], v[16:17], v[40:41]
	v_add_f64 v[150:151], v[18:19], v[42:43]
	v_add_f64 v[160:161], v[22:23], v[44:45]
	v_add_f64 v[162:163], v[24:25], v[46:47]
	v_add_f64 v[176:177], v[26:27], v[60:61]
	v_add_f64 v[178:179], v[28:29], v[54:55]
	v_add_f64 v[211:212], v[30:31], v[58:59]
	v_add_f64 v[213:214], v[56:57], v[62:63]
	v_add_f64 v[126:127], v[189:190], v[6:7]
	v_add_f64 v[130:131], v[187:188], v[4:5]
	v_add_f64 v[140:141], v[193:194], v[20:21]
	v_add_f64 v[142:143], v[191:192], v[10:11]
	v_add_f64 v[152:153], v[197:198], v[18:19]
	v_add_f64 v[154:155], v[195:196], v[16:17]
	v_add_f64 v[172:173], v[201:202], v[24:25]
	v_add_f64 v[174:175], v[199:200], v[22:23]
	v_add_f64 v[207:208], v[205:206], v[28:29]
	v_add_f64 v[209:210], v[203:204], v[26:27]
	v_add_f64 v[215:216], v[2:3], v[56:57]
	v_add_f64 v[217:218], v[0:1], v[30:31]
	v_add_f64 v[227:228], v[56:57], -v[62:63]
	v_fma_f64 v[56:57], v[34:35], -0.5, v[92:93]
	v_fma_f64 v[64:65], v[64:65], -0.5, v[94:95]
	v_add_f64 v[68:69], v[68:69], -v[52:53]
	v_add_f64 v[132:133], v[6:7], -v[36:37]
	;; [unrolled: 1-line block ×3, first 2 shown]
	v_add_f64 v[6:7], v[66:67], v[76:77]
	v_add_f64 v[4:5], v[70:71], v[128:129]
	v_fma_f64 v[66:67], v[80:81], -0.5, v[164:165]
	v_fma_f64 v[70:71], v[82:83], -0.5, v[166:167]
	v_add_f64 v[84:85], v[84:85], -v[74:75]
	v_fma_f64 v[76:77], v[102:103], -0.5, v[168:169]
	v_fma_f64 v[80:81], v[104:105], -0.5, v[170:171]
	v_add_f64 v[118:119], v[8:9], -v[88:89]
	v_add_f64 v[120:121], v[14:15], -v[86:87]
	v_add_f64 v[14:15], v[106:107], v[12:13]
	v_add_f64 v[12:13], v[108:109], v[74:75]
	v_fma_f64 v[74:75], v[32:33], -0.5, v[183:184]
	v_fma_f64 v[82:83], v[112:113], -0.5, v[185:186]
	v_add_f64 v[156:157], v[18:19], -v[42:43]
	v_add_f64 v[158:159], v[16:17], -v[40:41]
	v_add_f64 v[18:19], v[114:115], v[88:89]
	v_add_f64 v[16:17], v[116:117], v[86:87]
	v_fma_f64 v[86:87], v[122:123], -0.5, v[187:188]
	v_fma_f64 v[88:89], v[124:125], -0.5, v[189:190]
	v_add_f64 v[144:145], v[20:21], -v[50:51]
	v_add_f64 v[146:147], v[10:11], -v[38:39]
	v_add_f64 v[10:11], v[90:91], v[52:53]
	v_fma_f64 v[90:91], v[136:137], -0.5, v[191:192]
	v_fma_f64 v[92:93], v[138:139], -0.5, v[193:194]
	v_add_f64 v[219:220], v[24:25], -v[46:47]
	v_add_f64 v[221:222], v[22:23], -v[44:45]
	;; [unrolled: 1-line block ×5, first 2 shown]
	v_add_f64 v[8:9], v[98:99], v[96:97]
	v_fma_f64 v[94:95], v[148:149], -0.5, v[195:196]
	v_fma_f64 v[96:97], v[150:151], -0.5, v[197:198]
	;; [unrolled: 1-line block ×8, first 2 shown]
	v_add_f64 v[22:23], v[126:127], v[36:37]
	v_add_f64 v[20:21], v[130:131], v[48:49]
	;; [unrolled: 1-line block ×12, first 2 shown]
	v_fma_f64 v[40:41], v[72:73], s[4:5], v[56:57]
	v_fma_f64 v[42:43], v[78:79], s[6:7], v[64:65]
	;; [unrolled: 1-line block ×40, first 2 shown]
	ds_write_b128 v182, v[4:7]
	ds_write_b128 v182, v[8:11] offset:1440
	ds_write_b128 v182, v[12:15] offset:2880
	;; [unrolled: 1-line block ×29, first 2 shown]
	s_waitcnt lgkmcnt(0)
	s_barrier
	buffer_gl0_inv
	s_and_saveexec_b32 s0, vcc_lo
	s_cbranch_execz .LBB0_19
; %bb.18:
	s_clause 0x3
	buffer_load_dword v33, off, s[28:31], 0 offset:24
	buffer_load_dword v34, off, s[28:31], 0 offset:28
	buffer_load_dword v35, off, s[28:31], 0 offset:32
	buffer_load_dword v36, off, s[28:31], 0 offset:36
	s_waitcnt vmcnt(3)
	v_lshl_add_u32 v30, v33, 4, 0
	s_waitcnt vmcnt(0)
	v_mov_b32_e32 v34, v36
	v_add_nc_u32_e32 v35, 0x5a, v33
	ds_read_b128 v[0:3], v30
	s_clause 0x1
	buffer_load_dword v4, off, s[28:31], 0
	buffer_load_dword v5, off, s[28:31], 0 offset:4
	v_lshlrev_b64 v[18:19], 4, v[33:34]
	v_lshlrev_b64 v[16:17], 4, v[35:36]
	v_add_nc_u32_e32 v35, 0xb4, v33
	v_lshlrev_b64 v[20:21], 4, v[35:36]
	v_add_nc_u32_e32 v35, 0x10e, v33
	v_lshlrev_b64 v[24:25], 4, v[35:36]
	v_add_nc_u32_e32 v35, 0x168, v33
	v_lshlrev_b64 v[26:27], 4, v[35:36]
	v_add_nc_u32_e32 v35, 0x1c2, v33
	v_lshlrev_b64 v[28:29], 4, v[35:36]
	v_add_nc_u32_e32 v35, 0x21c, v33
	s_waitcnt vmcnt(1)
	v_add_co_u32 v31, vcc_lo, s2, v4
	s_waitcnt vmcnt(0)
	v_add_co_ci_u32_e32 v32, vcc_lo, s3, v5, vcc_lo
	ds_read_b128 v[4:7], v30 offset:1440
	ds_read_b128 v[8:11], v30 offset:2880
	;; [unrolled: 1-line block ×3, first 2 shown]
	v_add_co_u32 v18, vcc_lo, v31, v18
	v_add_co_ci_u32_e32 v19, vcc_lo, v32, v19, vcc_lo
	v_add_co_u32 v22, vcc_lo, v31, v16
	v_add_co_ci_u32_e32 v23, vcc_lo, v32, v17, vcc_lo
	s_waitcnt lgkmcnt(3)
	global_store_dwordx4 v[18:19], v[0:3], off
	ds_read_b128 v[0:3], v30 offset:4320
	ds_read_b128 v[16:19], v30 offset:5760
	v_add_co_u32 v20, vcc_lo, v31, v20
	v_add_co_ci_u32_e32 v21, vcc_lo, v32, v21, vcc_lo
	v_add_co_u32 v24, vcc_lo, v31, v24
	v_add_co_ci_u32_e32 v25, vcc_lo, v32, v25, vcc_lo
	;; [unrolled: 2-line block ×3, first 2 shown]
	s_waitcnt lgkmcnt(4)
	global_store_dwordx4 v[22:23], v[4:7], off
	s_waitcnt lgkmcnt(3)
	global_store_dwordx4 v[20:21], v[8:11], off
	;; [unrolled: 2-line block ×4, first 2 shown]
	v_lshlrev_b64 v[20:21], 4, v[35:36]
	v_add_nc_u32_e32 v35, 0x276, v33
	ds_read_b128 v[0:3], v30 offset:7200
	ds_read_b128 v[4:7], v30 offset:8640
	;; [unrolled: 1-line block ×4, first 2 shown]
	v_add_co_u32 v22, vcc_lo, v31, v28
	v_lshlrev_b64 v[24:25], 4, v[35:36]
	v_add_nc_u32_e32 v35, 0x2d0, v33
	v_add_co_ci_u32_e32 v23, vcc_lo, v32, v29, vcc_lo
	v_add_co_u32 v20, vcc_lo, v31, v20
	v_lshlrev_b64 v[26:27], 4, v[35:36]
	v_add_nc_u32_e32 v35, 0x32a, v33
	v_add_co_ci_u32_e32 v21, vcc_lo, v32, v21, vcc_lo
	v_add_co_u32 v24, vcc_lo, v31, v24
	v_add_co_ci_u32_e32 v25, vcc_lo, v32, v25, vcc_lo
	v_add_co_u32 v26, vcc_lo, v31, v26
	v_lshlrev_b64 v[28:29], 4, v[35:36]
	v_add_nc_u32_e32 v35, 0x384, v33
	v_add_co_ci_u32_e32 v27, vcc_lo, v32, v27, vcc_lo
	s_waitcnt lgkmcnt(3)
	global_store_dwordx4 v[22:23], v[0:3], off
	s_waitcnt lgkmcnt(2)
	global_store_dwordx4 v[20:21], v[4:7], off
	s_waitcnt lgkmcnt(1)
	global_store_dwordx4 v[24:25], v[8:11], off
	s_waitcnt lgkmcnt(0)
	global_store_dwordx4 v[26:27], v[16:19], off
	ds_read_b128 v[0:3], v30 offset:12960
	ds_read_b128 v[4:7], v30 offset:14400
	v_lshlrev_b64 v[20:21], 4, v[35:36]
	v_add_nc_u32_e32 v35, 0x3de, v33
	ds_read_b128 v[8:11], v30 offset:15840
	ds_read_b128 v[16:19], v30 offset:17280
	v_add_co_u32 v22, vcc_lo, v31, v28
	v_add_co_ci_u32_e32 v23, vcc_lo, v32, v29, vcc_lo
	v_lshlrev_b64 v[24:25], 4, v[35:36]
	v_add_nc_u32_e32 v35, 0x438, v33
	v_add_co_u32 v20, vcc_lo, v31, v20
	v_add_co_ci_u32_e32 v21, vcc_lo, v32, v21, vcc_lo
	v_lshlrev_b64 v[26:27], 4, v[35:36]
	v_add_nc_u32_e32 v35, 0x492, v33
	v_add_co_u32 v24, vcc_lo, v31, v24
	v_add_co_ci_u32_e32 v25, vcc_lo, v32, v25, vcc_lo
	v_add_co_u32 v26, vcc_lo, v31, v26
	v_lshlrev_b64 v[28:29], 4, v[35:36]
	v_add_nc_u32_e32 v35, 0x4ec, v33
	v_add_co_ci_u32_e32 v27, vcc_lo, v32, v27, vcc_lo
	s_waitcnt lgkmcnt(3)
	global_store_dwordx4 v[22:23], v[0:3], off
	s_waitcnt lgkmcnt(2)
	global_store_dwordx4 v[20:21], v[4:7], off
	s_waitcnt lgkmcnt(1)
	global_store_dwordx4 v[24:25], v[8:11], off
	s_waitcnt lgkmcnt(0)
	global_store_dwordx4 v[26:27], v[16:19], off
	ds_read_b128 v[0:3], v30 offset:18720
	ds_read_b128 v[4:7], v30 offset:20160
	v_lshlrev_b64 v[20:21], 4, v[35:36]
	v_add_nc_u32_e32 v35, 0x546, v33
	ds_read_b128 v[8:11], v30 offset:21600
	ds_read_b128 v[16:19], v30 offset:23040
	v_add_co_u32 v22, vcc_lo, v31, v28
	v_add_co_ci_u32_e32 v23, vcc_lo, v32, v29, vcc_lo
	v_lshlrev_b64 v[24:25], 4, v[35:36]
	v_add_nc_u32_e32 v35, 0x5a0, v33
	v_add_co_u32 v20, vcc_lo, v31, v20
	v_add_co_ci_u32_e32 v21, vcc_lo, v32, v21, vcc_lo
	v_lshlrev_b64 v[26:27], 4, v[35:36]
	v_add_nc_u32_e32 v35, 0x5fa, v33
	;; [unrolled: 28-line block ×4, first 2 shown]
	v_add_co_u32 v24, vcc_lo, v31, v24
	v_add_co_ci_u32_e32 v25, vcc_lo, v32, v25, vcc_lo
	v_lshlrev_b64 v[28:29], 4, v[35:36]
	v_add_nc_u32_e32 v35, 0x924, v33
	v_add_co_u32 v26, vcc_lo, v31, v26
	v_add_co_ci_u32_e32 v27, vcc_lo, v32, v27, vcc_lo
	s_waitcnt lgkmcnt(3)
	global_store_dwordx4 v[22:23], v[0:3], off
	s_waitcnt lgkmcnt(2)
	global_store_dwordx4 v[20:21], v[4:7], off
	;; [unrolled: 2-line block ×4, first 2 shown]
	v_lshlrev_b64 v[20:21], 4, v[35:36]
	v_add_nc_u32_e32 v35, 0x97e, v33
	ds_read_b128 v[0:3], v30 offset:36000
	ds_read_b128 v[4:7], v30 offset:37440
	;; [unrolled: 1-line block ×4, first 2 shown]
	v_add_co_u32 v22, vcc_lo, v31, v28
	v_lshlrev_b64 v[24:25], 4, v[35:36]
	v_add_nc_u32_e32 v35, 0x9d8, v33
	v_add_co_ci_u32_e32 v23, vcc_lo, v32, v29, vcc_lo
	v_add_co_u32 v20, vcc_lo, v31, v20
	v_lshlrev_b64 v[26:27], 4, v[35:36]
	v_add_nc_u32_e32 v35, 0xa32, v33
	v_add_co_ci_u32_e32 v21, vcc_lo, v32, v21, vcc_lo
	v_add_co_u32 v24, vcc_lo, v31, v24
	v_lshlrev_b64 v[28:29], 4, v[35:36]
	v_add_co_ci_u32_e32 v25, vcc_lo, v32, v25, vcc_lo
	v_add_co_u32 v26, vcc_lo, v31, v26
	v_add_co_ci_u32_e32 v27, vcc_lo, v32, v27, vcc_lo
	v_add_co_u32 v28, vcc_lo, v31, v28
	v_add_co_ci_u32_e32 v29, vcc_lo, v32, v29, vcc_lo
	s_waitcnt lgkmcnt(3)
	global_store_dwordx4 v[22:23], v[0:3], off
	s_waitcnt lgkmcnt(2)
	global_store_dwordx4 v[20:21], v[4:7], off
	;; [unrolled: 2-line block ×4, first 2 shown]
	global_store_dwordx4 v[28:29], v[12:15], off
.LBB0_19:
	s_endpgm
	.section	.rodata,"a",@progbits
	.p2align	6, 0x0
	.amdhsa_kernel fft_rtc_back_len2700_factors_3_10_10_3_3_wgs_90_tpt_90_halfLds_dp_ip_CI_unitstride_sbrr_C2R_dirReg
		.amdhsa_group_segment_fixed_size 0
		.amdhsa_private_segment_fixed_size 44
		.amdhsa_kernarg_size 88
		.amdhsa_user_sgpr_count 6
		.amdhsa_user_sgpr_private_segment_buffer 1
		.amdhsa_user_sgpr_dispatch_ptr 0
		.amdhsa_user_sgpr_queue_ptr 0
		.amdhsa_user_sgpr_kernarg_segment_ptr 1
		.amdhsa_user_sgpr_dispatch_id 0
		.amdhsa_user_sgpr_flat_scratch_init 0
		.amdhsa_user_sgpr_private_segment_size 0
		.amdhsa_wavefront_size32 1
		.amdhsa_uses_dynamic_stack 0
		.amdhsa_system_sgpr_private_segment_wavefront_offset 1
		.amdhsa_system_sgpr_workgroup_id_x 1
		.amdhsa_system_sgpr_workgroup_id_y 0
		.amdhsa_system_sgpr_workgroup_id_z 0
		.amdhsa_system_sgpr_workgroup_info 0
		.amdhsa_system_vgpr_workitem_id 0
		.amdhsa_next_free_vgpr 256
		.amdhsa_next_free_sgpr 32
		.amdhsa_reserve_vcc 1
		.amdhsa_reserve_flat_scratch 0
		.amdhsa_float_round_mode_32 0
		.amdhsa_float_round_mode_16_64 0
		.amdhsa_float_denorm_mode_32 3
		.amdhsa_float_denorm_mode_16_64 3
		.amdhsa_dx10_clamp 1
		.amdhsa_ieee_mode 1
		.amdhsa_fp16_overflow 0
		.amdhsa_workgroup_processor_mode 1
		.amdhsa_memory_ordered 1
		.amdhsa_forward_progress 0
		.amdhsa_shared_vgpr_count 0
		.amdhsa_exception_fp_ieee_invalid_op 0
		.amdhsa_exception_fp_denorm_src 0
		.amdhsa_exception_fp_ieee_div_zero 0
		.amdhsa_exception_fp_ieee_overflow 0
		.amdhsa_exception_fp_ieee_underflow 0
		.amdhsa_exception_fp_ieee_inexact 0
		.amdhsa_exception_int_div_zero 0
	.end_amdhsa_kernel
	.text
.Lfunc_end0:
	.size	fft_rtc_back_len2700_factors_3_10_10_3_3_wgs_90_tpt_90_halfLds_dp_ip_CI_unitstride_sbrr_C2R_dirReg, .Lfunc_end0-fft_rtc_back_len2700_factors_3_10_10_3_3_wgs_90_tpt_90_halfLds_dp_ip_CI_unitstride_sbrr_C2R_dirReg
                                        ; -- End function
	.section	.AMDGPU.csdata,"",@progbits
; Kernel info:
; codeLenInByte = 26132
; NumSgprs: 34
; NumVgprs: 256
; ScratchSize: 44
; MemoryBound: 0
; FloatMode: 240
; IeeeMode: 1
; LDSByteSize: 0 bytes/workgroup (compile time only)
; SGPRBlocks: 4
; VGPRBlocks: 31
; NumSGPRsForWavesPerEU: 34
; NumVGPRsForWavesPerEU: 256
; Occupancy: 4
; WaveLimiterHint : 1
; COMPUTE_PGM_RSRC2:SCRATCH_EN: 1
; COMPUTE_PGM_RSRC2:USER_SGPR: 6
; COMPUTE_PGM_RSRC2:TRAP_HANDLER: 0
; COMPUTE_PGM_RSRC2:TGID_X_EN: 1
; COMPUTE_PGM_RSRC2:TGID_Y_EN: 0
; COMPUTE_PGM_RSRC2:TGID_Z_EN: 0
; COMPUTE_PGM_RSRC2:TIDIG_COMP_CNT: 0
	.text
	.p2alignl 6, 3214868480
	.fill 48, 4, 3214868480
	.type	__hip_cuid_cfaba974e718e12b,@object ; @__hip_cuid_cfaba974e718e12b
	.section	.bss,"aw",@nobits
	.globl	__hip_cuid_cfaba974e718e12b
__hip_cuid_cfaba974e718e12b:
	.byte	0                               ; 0x0
	.size	__hip_cuid_cfaba974e718e12b, 1

	.ident	"AMD clang version 19.0.0git (https://github.com/RadeonOpenCompute/llvm-project roc-6.4.0 25133 c7fe45cf4b819c5991fe208aaa96edf142730f1d)"
	.section	".note.GNU-stack","",@progbits
	.addrsig
	.addrsig_sym __hip_cuid_cfaba974e718e12b
	.amdgpu_metadata
---
amdhsa.kernels:
  - .args:
      - .actual_access:  read_only
        .address_space:  global
        .offset:         0
        .size:           8
        .value_kind:     global_buffer
      - .offset:         8
        .size:           8
        .value_kind:     by_value
      - .actual_access:  read_only
        .address_space:  global
        .offset:         16
        .size:           8
        .value_kind:     global_buffer
      - .actual_access:  read_only
        .address_space:  global
        .offset:         24
        .size:           8
        .value_kind:     global_buffer
      - .offset:         32
        .size:           8
        .value_kind:     by_value
      - .actual_access:  read_only
        .address_space:  global
        .offset:         40
        .size:           8
        .value_kind:     global_buffer
      - .actual_access:  read_only
        .address_space:  global
        .offset:         48
        .size:           8
        .value_kind:     global_buffer
      - .offset:         56
        .size:           4
        .value_kind:     by_value
      - .actual_access:  read_only
        .address_space:  global
        .offset:         64
        .size:           8
        .value_kind:     global_buffer
      - .actual_access:  read_only
        .address_space:  global
        .offset:         72
        .size:           8
        .value_kind:     global_buffer
      - .address_space:  global
        .offset:         80
        .size:           8
        .value_kind:     global_buffer
    .group_segment_fixed_size: 0
    .kernarg_segment_align: 8
    .kernarg_segment_size: 88
    .language:       OpenCL C
    .language_version:
      - 2
      - 0
    .max_flat_workgroup_size: 90
    .name:           fft_rtc_back_len2700_factors_3_10_10_3_3_wgs_90_tpt_90_halfLds_dp_ip_CI_unitstride_sbrr_C2R_dirReg
    .private_segment_fixed_size: 44
    .sgpr_count:     34
    .sgpr_spill_count: 0
    .symbol:         fft_rtc_back_len2700_factors_3_10_10_3_3_wgs_90_tpt_90_halfLds_dp_ip_CI_unitstride_sbrr_C2R_dirReg.kd
    .uniform_work_group_size: 1
    .uses_dynamic_stack: false
    .vgpr_count:     256
    .vgpr_spill_count: 11
    .wavefront_size: 32
    .workgroup_processor_mode: 1
amdhsa.target:   amdgcn-amd-amdhsa--gfx1030
amdhsa.version:
  - 1
  - 2
...

	.end_amdgpu_metadata
